;; amdgpu-corpus repo=ROCm/rocFFT kind=compiled arch=gfx1201 opt=O3
	.text
	.amdgcn_target "amdgcn-amd-amdhsa--gfx1201"
	.amdhsa_code_object_version 6
	.protected	fft_rtc_back_len3840_factors_10_6_2_2_2_2_2_2_wgs_128_tpt_128_halfLds_dp_op_CI_CI_unitstride_sbrr_R2C_dirReg ; -- Begin function fft_rtc_back_len3840_factors_10_6_2_2_2_2_2_2_wgs_128_tpt_128_halfLds_dp_op_CI_CI_unitstride_sbrr_R2C_dirReg
	.globl	fft_rtc_back_len3840_factors_10_6_2_2_2_2_2_2_wgs_128_tpt_128_halfLds_dp_op_CI_CI_unitstride_sbrr_R2C_dirReg
	.p2align	8
	.type	fft_rtc_back_len3840_factors_10_6_2_2_2_2_2_2_wgs_128_tpt_128_halfLds_dp_op_CI_CI_unitstride_sbrr_R2C_dirReg,@function
fft_rtc_back_len3840_factors_10_6_2_2_2_2_2_2_wgs_128_tpt_128_halfLds_dp_op_CI_CI_unitstride_sbrr_R2C_dirReg: ; @fft_rtc_back_len3840_factors_10_6_2_2_2_2_2_2_wgs_128_tpt_128_halfLds_dp_op_CI_CI_unitstride_sbrr_R2C_dirReg
; %bb.0:
	s_clause 0x2
	s_load_b128 s[8:11], s[0:1], 0x0
	s_load_b128 s[4:7], s[0:1], 0x58
	;; [unrolled: 1-line block ×3, first 2 shown]
	v_mov_b32_e32 v4, 0
	v_mov_b32_e32 v2, 0
	v_dual_mov_b32 v3, 0 :: v_dual_mov_b32 v6, ttmp9
	s_mov_b32 s3, 0
	s_delay_alu instid0(VALU_DEP_3) | instskip(SKIP_2) | instid1(VALU_DEP_1)
	v_mov_b32_e32 v7, v4
	s_wait_kmcnt 0x0
	v_cmp_lt_u64_e64 s2, s[10:11], 2
	s_and_b32 vcc_lo, exec_lo, s2
	s_cbranch_vccnz .LBB0_8
; %bb.1:
	s_load_b64 s[20:21], s[0:1], 0x10
	v_mov_b32_e32 v2, 0
	v_mov_b32_e32 v3, 0
	s_add_nc_u64 s[16:17], s[14:15], 8
	s_add_nc_u64 s[18:19], s[12:13], 8
	s_mov_b64 s[22:23], 1
	s_delay_alu instid0(VALU_DEP_1)
	v_dual_mov_b32 v143, v3 :: v_dual_mov_b32 v142, v2
	s_wait_kmcnt 0x0
	s_add_nc_u64 s[20:21], s[20:21], 8
.LBB0_2:                                ; =>This Inner Loop Header: Depth=1
	s_load_b64 s[24:25], s[20:21], 0x0
                                        ; implicit-def: $vgpr144_vgpr145
	s_mov_b32 s2, exec_lo
	s_wait_kmcnt 0x0
	v_or_b32_e32 v5, s25, v7
	s_delay_alu instid0(VALU_DEP_1)
	v_cmpx_ne_u64_e32 0, v[4:5]
	s_wait_alu 0xfffe
	s_xor_b32 s26, exec_lo, s2
	s_cbranch_execz .LBB0_4
; %bb.3:                                ;   in Loop: Header=BB0_2 Depth=1
	s_cvt_f32_u32 s2, s24
	s_cvt_f32_u32 s27, s25
	s_sub_nc_u64 s[30:31], 0, s[24:25]
	s_wait_alu 0xfffe
	s_delay_alu instid0(SALU_CYCLE_1) | instskip(SKIP_1) | instid1(SALU_CYCLE_2)
	s_fmamk_f32 s2, s27, 0x4f800000, s2
	s_wait_alu 0xfffe
	v_s_rcp_f32 s2, s2
	s_delay_alu instid0(TRANS32_DEP_1) | instskip(SKIP_1) | instid1(SALU_CYCLE_2)
	s_mul_f32 s2, s2, 0x5f7ffffc
	s_wait_alu 0xfffe
	s_mul_f32 s27, s2, 0x2f800000
	s_wait_alu 0xfffe
	s_delay_alu instid0(SALU_CYCLE_2) | instskip(SKIP_1) | instid1(SALU_CYCLE_2)
	s_trunc_f32 s27, s27
	s_wait_alu 0xfffe
	s_fmamk_f32 s2, s27, 0xcf800000, s2
	s_cvt_u32_f32 s29, s27
	s_wait_alu 0xfffe
	s_delay_alu instid0(SALU_CYCLE_1) | instskip(SKIP_1) | instid1(SALU_CYCLE_2)
	s_cvt_u32_f32 s28, s2
	s_wait_alu 0xfffe
	s_mul_u64 s[34:35], s[30:31], s[28:29]
	s_wait_alu 0xfffe
	s_mul_hi_u32 s37, s28, s35
	s_mul_i32 s36, s28, s35
	s_mul_hi_u32 s2, s28, s34
	s_mul_i32 s33, s29, s34
	s_wait_alu 0xfffe
	s_add_nc_u64 s[36:37], s[2:3], s[36:37]
	s_mul_hi_u32 s27, s29, s34
	s_mul_hi_u32 s38, s29, s35
	s_add_co_u32 s2, s36, s33
	s_wait_alu 0xfffe
	s_add_co_ci_u32 s2, s37, s27
	s_mul_i32 s34, s29, s35
	s_add_co_ci_u32 s35, s38, 0
	s_wait_alu 0xfffe
	s_add_nc_u64 s[34:35], s[2:3], s[34:35]
	s_wait_alu 0xfffe
	v_add_co_u32 v1, s2, s28, s34
	s_delay_alu instid0(VALU_DEP_1) | instskip(SKIP_1) | instid1(VALU_DEP_1)
	s_cmp_lg_u32 s2, 0
	s_add_co_ci_u32 s29, s29, s35
	v_readfirstlane_b32 s28, v1
	s_wait_alu 0xfffe
	s_delay_alu instid0(VALU_DEP_1)
	s_mul_u64 s[30:31], s[30:31], s[28:29]
	s_wait_alu 0xfffe
	s_mul_hi_u32 s35, s28, s31
	s_mul_i32 s34, s28, s31
	s_mul_hi_u32 s2, s28, s30
	s_mul_i32 s33, s29, s30
	s_wait_alu 0xfffe
	s_add_nc_u64 s[34:35], s[2:3], s[34:35]
	s_mul_hi_u32 s27, s29, s30
	s_mul_hi_u32 s28, s29, s31
	s_wait_alu 0xfffe
	s_add_co_u32 s2, s34, s33
	s_add_co_ci_u32 s2, s35, s27
	s_mul_i32 s30, s29, s31
	s_add_co_ci_u32 s31, s28, 0
	s_wait_alu 0xfffe
	s_add_nc_u64 s[30:31], s[2:3], s[30:31]
	s_wait_alu 0xfffe
	v_add_co_u32 v1, s2, v1, s30
	s_delay_alu instid0(VALU_DEP_1) | instskip(SKIP_1) | instid1(VALU_DEP_1)
	s_cmp_lg_u32 s2, 0
	s_add_co_ci_u32 s2, s29, s31
	v_mul_hi_u32 v5, v6, v1
	s_wait_alu 0xfffe
	v_mad_co_u64_u32 v[8:9], null, v6, s2, 0
	v_mad_co_u64_u32 v[10:11], null, v7, v1, 0
	;; [unrolled: 1-line block ×3, first 2 shown]
	s_delay_alu instid0(VALU_DEP_3) | instskip(SKIP_1) | instid1(VALU_DEP_4)
	v_add_co_u32 v1, vcc_lo, v5, v8
	s_wait_alu 0xfffd
	v_add_co_ci_u32_e32 v5, vcc_lo, 0, v9, vcc_lo
	s_delay_alu instid0(VALU_DEP_2) | instskip(SKIP_1) | instid1(VALU_DEP_2)
	v_add_co_u32 v1, vcc_lo, v1, v10
	s_wait_alu 0xfffd
	v_add_co_ci_u32_e32 v1, vcc_lo, v5, v11, vcc_lo
	s_wait_alu 0xfffd
	v_add_co_ci_u32_e32 v5, vcc_lo, 0, v13, vcc_lo
	s_delay_alu instid0(VALU_DEP_2) | instskip(SKIP_1) | instid1(VALU_DEP_2)
	v_add_co_u32 v1, vcc_lo, v1, v12
	s_wait_alu 0xfffd
	v_add_co_ci_u32_e32 v5, vcc_lo, 0, v5, vcc_lo
	s_delay_alu instid0(VALU_DEP_2) | instskip(SKIP_1) | instid1(VALU_DEP_3)
	v_mul_lo_u32 v10, s25, v1
	v_mad_co_u64_u32 v[8:9], null, s24, v1, 0
	v_mul_lo_u32 v11, s24, v5
	s_delay_alu instid0(VALU_DEP_2) | instskip(NEXT) | instid1(VALU_DEP_2)
	v_sub_co_u32 v8, vcc_lo, v6, v8
	v_add3_u32 v9, v9, v11, v10
	s_delay_alu instid0(VALU_DEP_1) | instskip(SKIP_1) | instid1(VALU_DEP_1)
	v_sub_nc_u32_e32 v10, v7, v9
	s_wait_alu 0xfffd
	v_subrev_co_ci_u32_e64 v10, s2, s25, v10, vcc_lo
	v_add_co_u32 v11, s2, v1, 2
	s_wait_alu 0xf1ff
	v_add_co_ci_u32_e64 v12, s2, 0, v5, s2
	v_sub_co_u32 v13, s2, v8, s24
	v_sub_co_ci_u32_e32 v9, vcc_lo, v7, v9, vcc_lo
	s_wait_alu 0xf1ff
	v_subrev_co_ci_u32_e64 v10, s2, 0, v10, s2
	s_delay_alu instid0(VALU_DEP_3) | instskip(NEXT) | instid1(VALU_DEP_3)
	v_cmp_le_u32_e32 vcc_lo, s24, v13
	v_cmp_eq_u32_e64 s2, s25, v9
	s_wait_alu 0xfffd
	v_cndmask_b32_e64 v13, 0, -1, vcc_lo
	v_cmp_le_u32_e32 vcc_lo, s25, v10
	s_wait_alu 0xfffd
	v_cndmask_b32_e64 v14, 0, -1, vcc_lo
	v_cmp_le_u32_e32 vcc_lo, s24, v8
	;; [unrolled: 3-line block ×3, first 2 shown]
	s_wait_alu 0xfffd
	v_cndmask_b32_e64 v15, 0, -1, vcc_lo
	v_cmp_eq_u32_e32 vcc_lo, s25, v10
	s_wait_alu 0xf1ff
	s_delay_alu instid0(VALU_DEP_2)
	v_cndmask_b32_e64 v8, v15, v8, s2
	s_wait_alu 0xfffd
	v_cndmask_b32_e32 v10, v14, v13, vcc_lo
	v_add_co_u32 v13, vcc_lo, v1, 1
	s_wait_alu 0xfffd
	v_add_co_ci_u32_e32 v14, vcc_lo, 0, v5, vcc_lo
	s_delay_alu instid0(VALU_DEP_3) | instskip(SKIP_1) | instid1(VALU_DEP_2)
	v_cmp_ne_u32_e32 vcc_lo, 0, v10
	s_wait_alu 0xfffd
	v_dual_cndmask_b32 v9, v14, v12 :: v_dual_cndmask_b32 v10, v13, v11
	v_cmp_ne_u32_e32 vcc_lo, 0, v8
	s_wait_alu 0xfffd
	s_delay_alu instid0(VALU_DEP_2) | instskip(NEXT) | instid1(VALU_DEP_3)
	v_cndmask_b32_e32 v145, v5, v9, vcc_lo
	v_cndmask_b32_e32 v144, v1, v10, vcc_lo
.LBB0_4:                                ;   in Loop: Header=BB0_2 Depth=1
	s_wait_alu 0xfffe
	s_and_not1_saveexec_b32 s2, s26
	s_cbranch_execz .LBB0_6
; %bb.5:                                ;   in Loop: Header=BB0_2 Depth=1
	v_cvt_f32_u32_e32 v1, s24
	s_sub_co_i32 s26, 0, s24
	v_mov_b32_e32 v145, v4
	s_delay_alu instid0(VALU_DEP_2) | instskip(NEXT) | instid1(TRANS32_DEP_1)
	v_rcp_iflag_f32_e32 v1, v1
	v_mul_f32_e32 v1, 0x4f7ffffe, v1
	s_delay_alu instid0(VALU_DEP_1) | instskip(SKIP_1) | instid1(VALU_DEP_1)
	v_cvt_u32_f32_e32 v1, v1
	s_wait_alu 0xfffe
	v_mul_lo_u32 v5, s26, v1
	s_delay_alu instid0(VALU_DEP_1) | instskip(NEXT) | instid1(VALU_DEP_1)
	v_mul_hi_u32 v5, v1, v5
	v_add_nc_u32_e32 v1, v1, v5
	s_delay_alu instid0(VALU_DEP_1) | instskip(NEXT) | instid1(VALU_DEP_1)
	v_mul_hi_u32 v1, v6, v1
	v_mul_lo_u32 v5, v1, s24
	v_add_nc_u32_e32 v8, 1, v1
	s_delay_alu instid0(VALU_DEP_2) | instskip(NEXT) | instid1(VALU_DEP_1)
	v_sub_nc_u32_e32 v5, v6, v5
	v_subrev_nc_u32_e32 v9, s24, v5
	v_cmp_le_u32_e32 vcc_lo, s24, v5
	s_wait_alu 0xfffd
	s_delay_alu instid0(VALU_DEP_2) | instskip(SKIP_1) | instid1(VALU_DEP_2)
	v_cndmask_b32_e32 v5, v5, v9, vcc_lo
	v_cndmask_b32_e32 v1, v1, v8, vcc_lo
	v_cmp_le_u32_e32 vcc_lo, s24, v5
	s_delay_alu instid0(VALU_DEP_2) | instskip(SKIP_1) | instid1(VALU_DEP_1)
	v_add_nc_u32_e32 v8, 1, v1
	s_wait_alu 0xfffd
	v_cndmask_b32_e32 v144, v1, v8, vcc_lo
.LBB0_6:                                ;   in Loop: Header=BB0_2 Depth=1
	s_wait_alu 0xfffe
	s_or_b32 exec_lo, exec_lo, s2
	v_mul_lo_u32 v1, v145, s24
	s_delay_alu instid0(VALU_DEP_2)
	v_mul_lo_u32 v5, v144, s25
	s_load_b64 s[26:27], s[18:19], 0x0
	v_mad_co_u64_u32 v[8:9], null, v144, s24, 0
	s_load_b64 s[24:25], s[16:17], 0x0
	s_add_nc_u64 s[22:23], s[22:23], 1
	s_add_nc_u64 s[16:17], s[16:17], 8
	s_wait_alu 0xfffe
	v_cmp_ge_u64_e64 s2, s[22:23], s[10:11]
	s_add_nc_u64 s[18:19], s[18:19], 8
	s_add_nc_u64 s[20:21], s[20:21], 8
	v_add3_u32 v1, v9, v5, v1
	v_sub_co_u32 v5, vcc_lo, v6, v8
	s_wait_alu 0xfffd
	s_delay_alu instid0(VALU_DEP_2) | instskip(SKIP_2) | instid1(VALU_DEP_1)
	v_sub_co_ci_u32_e32 v1, vcc_lo, v7, v1, vcc_lo
	s_and_b32 vcc_lo, exec_lo, s2
	s_wait_kmcnt 0x0
	v_mul_lo_u32 v6, s26, v1
	v_mul_lo_u32 v7, s27, v5
	v_mad_co_u64_u32 v[2:3], null, s26, v5, v[2:3]
	v_mul_lo_u32 v1, s24, v1
	v_mul_lo_u32 v8, s25, v5
	v_mad_co_u64_u32 v[142:143], null, s24, v5, v[142:143]
	s_delay_alu instid0(VALU_DEP_4) | instskip(NEXT) | instid1(VALU_DEP_2)
	v_add3_u32 v3, v7, v3, v6
	v_add3_u32 v143, v8, v143, v1
	s_wait_alu 0xfffe
	s_cbranch_vccnz .LBB0_9
; %bb.7:                                ;   in Loop: Header=BB0_2 Depth=1
	v_dual_mov_b32 v6, v144 :: v_dual_mov_b32 v7, v145
	s_branch .LBB0_2
.LBB0_8:
	v_dual_mov_b32 v143, v3 :: v_dual_mov_b32 v142, v2
	v_dual_mov_b32 v145, v7 :: v_dual_mov_b32 v144, v6
.LBB0_9:
	s_load_b64 s[0:1], s[0:1], 0x28
	v_or_b32_e32 v146, 0x80, v0
	v_or_b32_e32 v148, 0x100, v0
	;; [unrolled: 1-line block ×14, first 2 shown]
	s_lshl_b64 s[10:11], s[10:11], 3
	s_wait_kmcnt 0x0
	v_cmp_gt_u64_e32 vcc_lo, s[0:1], v[144:145]
	v_cmp_le_u64_e64 s0, s[0:1], v[144:145]
	s_delay_alu instid0(VALU_DEP_1)
	s_and_saveexec_b32 s1, s0
	s_wait_alu 0xfffe
	s_xor_b32 s0, exec_lo, s1
	s_cbranch_execz .LBB0_11
; %bb.10:
	v_mov_b32_e32 v1, 0
	v_or_b32_e32 v146, 0x80, v0
	v_or_b32_e32 v148, 0x100, v0
	;; [unrolled: 1-line block ×14, first 2 shown]
	v_mov_b32_e32 v147, v1
	v_mov_b32_e32 v149, v1
	;; [unrolled: 1-line block ×14, first 2 shown]
                                        ; implicit-def: $vgpr2_vgpr3
.LBB0_11:
	s_wait_alu 0xfffe
	s_or_saveexec_b32 s1, s0
	s_add_nc_u64 s[2:3], s[14:15], s[10:11]
	s_wait_alu 0xfffe
	s_xor_b32 exec_lo, exec_lo, s1
	s_cbranch_execz .LBB0_13
; %bb.12:
	s_add_nc_u64 s[10:11], s[12:13], s[10:11]
	v_lshlrev_b32_e32 v122, 4, v0
	s_load_b64 s[10:11], s[10:11], 0x0
	v_lshlrev_b32_e32 v123, 4, v164
	s_delay_alu instid0(VALU_DEP_2)
	v_or_b32_e32 v124, 0x7800, v122
	v_or_b32_e32 v125, 0xb800, v122
	s_wait_kmcnt 0x0
	v_mul_lo_u32 v1, s11, v144
	v_mul_lo_u32 v6, s10, v145
	v_mad_co_u64_u32 v[4:5], null, s10, v144, 0
	s_delay_alu instid0(VALU_DEP_1) | instskip(SKIP_1) | instid1(VALU_DEP_2)
	v_add3_u32 v5, v5, v6, v1
	v_lshlrev_b64_e32 v[1:2], 4, v[2:3]
	v_lshlrev_b64_e32 v[4:5], 4, v[4:5]
	s_delay_alu instid0(VALU_DEP_1) | instskip(SKIP_1) | instid1(VALU_DEP_2)
	v_add_co_u32 v3, s0, s4, v4
	s_wait_alu 0xf1ff
	v_add_co_ci_u32_e64 v4, s0, s5, v5, s0
	s_delay_alu instid0(VALU_DEP_2) | instskip(SKIP_1) | instid1(VALU_DEP_2)
	v_add_co_u32 v1, s0, v3, v1
	s_wait_alu 0xf1ff
	v_add_co_ci_u32_e64 v2, s0, v4, v2, s0
	s_delay_alu instid0(VALU_DEP_2) | instskip(SKIP_1) | instid1(VALU_DEP_2)
	v_add_co_u32 v118, s0, v1, v122
	s_wait_alu 0xf1ff
	v_add_co_ci_u32_e64 v119, s0, 0, v2, s0
	v_add_co_u32 v50, s0, v1, v123
	s_wait_alu 0xf1ff
	v_add_co_ci_u32_e64 v51, s0, 0, v2, s0
	;; [unrolled: 3-line block ×3, first 2 shown]
	v_add_co_u32 v86, s0, v1, v125
	v_mov_b32_e32 v1, 0
	s_wait_alu 0xf1ff
	v_add_co_ci_u32_e64 v87, s0, 0, v2, s0
	s_clause 0x1d
	global_load_b128 v[2:5], v[118:119], off offset:2048
	global_load_b128 v[6:9], v[118:119], off offset:4096
	;; [unrolled: 1-line block ×12, first 2 shown]
	global_load_b128 v[50:53], v[50:51], off
	global_load_b128 v[54:57], v[118:119], off offset:28672
	global_load_b128 v[58:61], v[118:119], off offset:32768
	;; [unrolled: 1-line block ×7, first 2 shown]
	global_load_b128 v[82:85], v[82:83], off
	global_load_b128 v[86:89], v[86:87], off
	global_load_b128 v[90:93], v[118:119], off offset:45056
	global_load_b128 v[94:97], v[118:119], off offset:49152
	;; [unrolled: 1-line block ×6, first 2 shown]
	global_load_b128 v[114:117], v[118:119], off
	global_load_b128 v[118:121], v[118:119], off offset:59392
	v_dual_mov_b32 v147, v1 :: v_dual_add_nc_u32 v122, 0, v122
	v_dual_mov_b32 v149, v1 :: v_dual_add_nc_u32 v124, 0, v124
	v_mov_b32_e32 v173, v1
	v_mov_b32_e32 v171, v1
	v_mov_b32_e32 v169, v1
	v_mov_b32_e32 v167, v1
	v_mov_b32_e32 v165, v1
	v_mov_b32_e32 v163, v1
	v_mov_b32_e32 v161, v1
	v_mov_b32_e32 v159, v1
	v_mov_b32_e32 v157, v1
	v_mov_b32_e32 v155, v1
	v_mov_b32_e32 v153, v1
	v_mov_b32_e32 v127, v1
	v_add_nc_u32_e32 v123, 0, v123
	v_add_nc_u32_e32 v125, 0, v125
	s_wait_loadcnt 0x1d
	ds_store_b128 v122, v[2:5] offset:2048
	s_wait_loadcnt 0x1c
	ds_store_b128 v122, v[6:9] offset:4096
	s_wait_loadcnt 0x1b
	ds_store_b128 v122, v[10:13] offset:6144
	s_wait_loadcnt 0x1a
	ds_store_b128 v122, v[14:17] offset:8192
	s_wait_loadcnt 0x19
	ds_store_b128 v122, v[18:21] offset:10240
	s_wait_loadcnt 0x18
	ds_store_b128 v122, v[22:25] offset:12288
	s_wait_loadcnt 0x17
	ds_store_b128 v122, v[26:29] offset:16384
	s_wait_loadcnt 0x16
	ds_store_b128 v122, v[30:33] offset:18432
	s_wait_loadcnt 0x15
	ds_store_b128 v122, v[34:37] offset:20480
	s_wait_loadcnt 0x14
	ds_store_b128 v122, v[38:41] offset:22528
	s_wait_loadcnt 0x13
	ds_store_b128 v122, v[42:45] offset:24576
	s_wait_loadcnt 0x12
	ds_store_b128 v122, v[46:49] offset:26624
	s_wait_loadcnt 0x11
	ds_store_b128 v123, v[50:53]
	s_wait_loadcnt 0x10
	ds_store_b128 v122, v[54:57] offset:28672
	s_wait_loadcnt 0xf
	ds_store_b128 v122, v[58:61] offset:32768
	s_wait_loadcnt 0xe
	ds_store_b128 v122, v[62:65] offset:34816
	s_wait_loadcnt 0xd
	ds_store_b128 v122, v[66:69] offset:36864
	s_wait_loadcnt 0xc
	ds_store_b128 v122, v[70:73] offset:38912
	s_wait_loadcnt 0xb
	ds_store_b128 v122, v[74:77] offset:40960
	s_wait_loadcnt 0xa
	ds_store_b128 v122, v[78:81] offset:43008
	s_wait_loadcnt 0x9
	ds_store_b128 v124, v[82:85]
	s_wait_loadcnt 0x8
	ds_store_b128 v125, v[86:89]
	s_wait_loadcnt 0x7
	ds_store_b128 v122, v[90:93] offset:45056
	s_wait_loadcnt 0x6
	ds_store_b128 v122, v[94:97] offset:49152
	;; [unrolled: 2-line block ×6, first 2 shown]
	s_wait_loadcnt 0x1
	ds_store_b128 v122, v[114:117]
	s_wait_loadcnt 0x0
	ds_store_b128 v122, v[118:121] offset:59392
.LBB0_13:
	s_or_b32 exec_lo, exec_lo, s1
	v_lshlrev_b32_e32 v183, 4, v0
	scratch_store_b64 off, v[126:127], off  ; 8-byte Folded Spill
	s_load_b64 s[2:3], s[2:3], 0x0
	global_wb scope:SCOPE_SE
	s_wait_storecnt_dscnt 0x0
	s_wait_kmcnt 0x0
	s_barrier_signal -1
	v_add_nc_u32_e32 v182, 0, v183
	s_barrier_wait -1
	global_inv scope:SCOPE_SE
	s_mov_b32 s12, 0x134454ff
	s_mov_b32 s13, 0xbfee6f0e
	ds_load_b128 v[6:9], v182 offset:12288
	ds_load_b128 v[2:5], v182
	ds_load_b128 v[14:17], v182 offset:6144
	ds_load_b128 v[22:25], v182 offset:18432
	;; [unrolled: 1-line block ×28, first 2 shown]
	s_mov_b32 s1, 0x3fee6f0e
	s_mov_b32 s0, s12
	;; [unrolled: 1-line block ×4, first 2 shown]
	s_wait_dscnt 0x1c
	v_add_f64_e32 v[124:125], v[4:5], v[8:9]
	s_mov_b32 s5, 0x3fe2cf23
	s_wait_dscnt 0x1a
	v_add_f64_e32 v[126:127], v[14:15], v[22:23]
	v_add_f64_e32 v[128:129], v[16:17], v[24:25]
	s_wait_dscnt 0xb
	v_add_f64_e32 v[184:185], v[22:23], v[78:79]
	v_add_f64_e32 v[192:193], v[24:25], v[80:81]
	;; [unrolled: 1-line block ×4, first 2 shown]
	v_add_f64_e64 v[198:199], v[8:9], -v[52:53]
	v_add_f64_e32 v[136:137], v[8:9], v[28:29]
	v_add_f64_e64 v[140:141], v[8:9], -v[28:29]
	v_add_f64_e64 v[8:9], v[52:53], -v[8:9]
	;; [unrolled: 1-line block ×3, first 2 shown]
	v_add_f64_e32 v[138:139], v[46:47], v[62:63]
	v_add_f64_e32 v[190:191], v[48:49], v[64:65]
	v_add_f64_e64 v[210:211], v[46:47], -v[62:63]
	v_add_f64_e32 v[130:131], v[50:51], v[34:35]
	v_add_f64_e32 v[132:133], v[6:7], v[26:27]
	v_add_f64_e64 v[204:205], v[48:49], -v[64:65]
	v_add_f64_e64 v[206:207], v[22:23], -v[46:47]
	;; [unrolled: 1-line block ×5, first 2 shown]
	v_add_f64_e32 v[222:223], v[38:39], v[30:31]
	v_add_f64_e32 v[226:227], v[40:41], v[32:33]
	;; [unrolled: 1-line block ×3, first 2 shown]
	v_add_f64_e64 v[22:23], v[22:23], -v[78:79]
	v_add_f64_e64 v[230:231], v[44:45], -v[12:13]
	;; [unrolled: 1-line block ×5, first 2 shown]
	s_mov_b32 s4, s14
	v_add_f64_e32 v[122:123], v[2:3], v[6:7]
	v_add_f64_e64 v[174:175], v[52:53], -v[36:37]
	s_mov_b32 s10, 0x372fe950
	s_mov_b32 s11, 0x3fd3c6ef
	v_add_f64_e32 v[134:135], v[52:53], v[36:37]
	v_add_f64_e64 v[176:177], v[6:7], -v[50:51]
	v_add_f64_e64 v[178:179], v[26:27], -v[34:35]
	;; [unrolled: 1-line block ×3, first 2 shown]
	v_add_f64_e32 v[46:47], v[126:127], v[46:47]
	v_add_f64_e32 v[48:49], v[128:129], v[48:49]
	v_add_f64_e64 v[126:127], v[42:43], -v[38:39]
	v_add_f64_e64 v[128:129], v[38:39], -v[42:43]
	v_add_f64_e32 v[186:187], v[186:187], v[38:39]
	v_add_f64_e32 v[40:41], v[188:189], v[40:41]
	v_add_f64_e64 v[188:189], v[38:39], -v[30:31]
	v_add_f64_e64 v[38:39], v[64:65], -v[80:81]
	;; [unrolled: 1-line block ×4, first 2 shown]
	v_add_f64_e32 v[8:9], v[8:9], v[202:203]
	v_fma_f64 v[138:139], v[138:139], -0.5, v[14:15]
	v_fma_f64 v[14:15], v[184:185], -0.5, v[14:15]
	;; [unrolled: 1-line block ×6, first 2 shown]
	v_add_f64_e32 v[52:53], v[124:125], v[52:53]
	v_add_f64_e64 v[124:125], v[34:35], -v[26:27]
	v_add_f64_e64 v[218:219], v[62:63], -v[78:79]
	;; [unrolled: 1-line block ×5, first 2 shown]
	v_add_f64_e32 v[224:225], v[42:43], v[10:11]
	s_wait_dscnt 0x3
	v_add_f64_e32 v[194:195], v[102:103], v[110:111]
	v_add_f64_e32 v[196:197], v[104:105], v[112:113]
	v_fma_f64 v[222:223], v[222:223], -0.5, v[18:19]
	v_fma_f64 v[226:227], v[226:227], -0.5, v[20:21]
	;; [unrolled: 1-line block ×3, first 2 shown]
	s_mov_b32 s20, 0x9b97f4a8
	v_add_f64_e32 v[122:123], v[122:123], v[50:51]
	v_add_f64_e64 v[50:51], v[50:51], -v[34:35]
	s_mov_b32 s21, 0x3fe9e377
	s_mov_b32 s19, 0xbfe9e377
	v_fma_f64 v[132:133], v[134:135], -0.5, v[4:5]
	v_fma_f64 v[4:5], v[136:137], -0.5, v[4:5]
	v_add_f64_e32 v[176:177], v[176:177], v[178:179]
	v_add_f64_e32 v[178:179], v[198:199], v[200:201]
	s_mov_b32 s18, s20
	v_add_f64_e32 v[20:21], v[48:49], v[64:65]
	v_add_f64_e32 v[236:237], v[86:87], v[94:95]
	;; [unrolled: 1-line block ×4, first 2 shown]
	s_mov_b32 s17, 0xbfd3c6ef
	s_wait_alu 0xfffe
	s_mov_b32 s16, s10
	v_add_f64_e32 v[38:39], v[214:215], v[38:39]
	v_add_f64_e32 v[198:199], v[206:207], v[216:217]
	s_wait_dscnt 0x1
	v_add_f64_e32 v[238:239], v[110:111], v[118:119]
	v_add_f64_e64 v[134:135], v[10:11], -v[30:31]
	v_add_f64_e64 v[136:137], v[30:31], -v[10:11]
	;; [unrolled: 1-line block ×4, first 2 shown]
	v_fma_f64 v[202:203], v[210:211], s[12:13], v[16:17]
	v_fma_f64 v[16:17], v[210:211], s[0:1], v[16:17]
	;; [unrolled: 1-line block ×4, first 2 shown]
	v_add_f64_e32 v[124:125], v[180:181], v[124:125]
	v_add_f64_e32 v[180:181], v[208:209], v[218:219]
	v_fma_f64 v[208:209], v[24:25], s[12:13], v[138:139]
	v_add_f64_e32 v[36:37], v[52:53], v[36:37]
	v_add_f64_e32 v[200:201], v[212:213], v[220:221]
	v_fma_f64 v[224:225], v[224:225], -0.5, v[18:19]
	v_add_f64_e32 v[18:19], v[46:47], v[62:63]
	v_add_f64_e32 v[194:195], v[194:195], v[86:87]
	v_add_f64_e32 v[196:197], v[196:197], v[88:89]
	v_add_f64_e32 v[52:53], v[88:89], v[96:97]
	v_add_f64_e64 v[240:241], v[110:111], -v[86:87]
	v_add_f64_e64 v[242:243], v[86:87], -v[110:111]
	v_add_f64_e32 v[34:35], v[122:123], v[34:35]
	v_add_f64_e32 v[122:123], v[112:113], v[120:121]
	v_add_f64_e64 v[46:47], v[110:111], -v[118:119]
	v_add_f64_e64 v[48:49], v[112:113], -v[88:89]
	v_fma_f64 v[212:213], v[6:7], s[0:1], v[132:133]
	v_add_f64_e64 v[62:63], v[88:89], -v[112:113]
	v_add_f64_e64 v[64:65], v[88:89], -v[96:97]
	;; [unrolled: 1-line block ×4, first 2 shown]
	v_add_f64_e32 v[20:21], v[20:21], v[80:81]
	v_add_f64_e32 v[80:81], v[76:77], v[84:85]
	;; [unrolled: 1-line block ×4, first 2 shown]
	v_add_f64_e64 v[110:111], v[118:119], -v[94:95]
	v_add_f64_e64 v[112:113], v[94:95], -v[118:119]
	;; [unrolled: 1-line block ×3, first 2 shown]
	v_fma_f64 v[216:217], v[248:249], -0.5, v[70:71]
	v_add_f64_e64 v[186:187], v[120:121], -v[96:97]
	v_add_f64_e64 v[244:245], v[58:59], -v[74:75]
	;; [unrolled: 1-line block ×5, first 2 shown]
	v_fma_f64 v[202:203], v[22:23], s[4:5], v[202:203]
	v_fma_f64 v[16:17], v[22:23], s[14:15], v[16:17]
	v_add_f64_e64 v[42:43], v[42:43], -v[10:11]
	v_fma_f64 v[130:131], v[174:175], s[4:5], v[130:131]
	v_add_f64_e32 v[128:129], v[128:129], v[136:137]
	global_wb scope:SCOPE_SE
	s_wait_dscnt 0x0
	s_barrier_signal -1
	v_add_f64_e32 v[28:29], v[36:37], v[28:29]
	v_add_f64_e32 v[36:37], v[72:73], v[76:77]
	s_barrier_wait -1
	v_add_f64_e32 v[18:19], v[18:19], v[78:79]
	v_add_f64_e32 v[78:79], v[74:75], v[82:83]
	;; [unrolled: 1-line block ×4, first 2 shown]
	v_fma_f64 v[52:53], v[52:53], -0.5, v[104:105]
	v_add_f64_e64 v[96:97], v[96:97], -v[120:121]
	v_add_f64_e32 v[26:27], v[34:35], v[26:27]
	v_add_f64_e32 v[34:35], v[70:71], v[74:75]
	v_fma_f64 v[104:105], v[122:123], -0.5, v[104:105]
	v_add_f64_e64 v[194:195], v[76:77], -v[84:85]
	v_add_f64_e64 v[196:197], v[74:75], -v[58:59]
	;; [unrolled: 1-line block ×4, first 2 shown]
	global_inv scope:SCOPE_SE
	v_add_f64_e32 v[44:45], v[44:45], v[88:89]
	v_add_f64_e32 v[248:249], v[30:31], v[10:11]
	;; [unrolled: 1-line block ×5, first 2 shown]
	v_fma_f64 v[202:203], v[38:39], s[10:11], v[202:203]
	v_fma_f64 v[16:17], v[38:39], s[10:11], v[16:17]
	;; [unrolled: 1-line block ×7, first 2 shown]
	v_add_f64_e32 v[36:37], v[36:37], v[60:61]
	v_add_f64_e64 v[60:61], v[60:61], -v[68:69]
	v_fma_f64 v[70:71], v[78:79], -0.5, v[70:71]
	v_fma_f64 v[78:79], v[250:251], -0.5, v[72:73]
	;; [unrolled: 1-line block ×3, first 2 shown]
	v_add_f64_e32 v[250:251], v[32:33], v[12:13]
	v_add_f64_e32 v[118:119], v[40:41], v[118:119]
	;; [unrolled: 1-line block ×4, first 2 shown]
	v_add_f64_e64 v[58:59], v[58:59], -v[66:67]
	v_add_f64_e32 v[62:63], v[62:63], v[96:97]
	v_fma_f64 v[38:39], v[210:211], s[4:5], v[38:39]
	v_fma_f64 v[22:23], v[210:211], s[14:15], v[22:23]
	;; [unrolled: 1-line block ×6, first 2 shown]
	v_add_f64_e32 v[36:37], v[36:37], v[68:69]
	v_add_f64_e64 v[210:211], v[116:117], -v[56:57]
	v_add_f64_e64 v[68:69], v[68:69], -v[84:85]
	v_add_f64_e32 v[34:35], v[34:35], v[66:67]
	v_add_f64_e64 v[66:67], v[66:67], -v[82:83]
	v_fma_f64 v[38:39], v[200:201], s[10:11], v[38:39]
	v_fma_f64 v[22:23], v[200:201], s[10:11], v[22:23]
	;; [unrolled: 1-line block ×10, first 2 shown]
	v_mul_f64_e32 v[2:3], s[12:13], v[202:203]
	v_mul_f64_e32 v[202:203], s[10:11], v[202:203]
	v_add_f64_e32 v[150:151], v[36:37], v[84:85]
	v_add_f64_e32 v[36:37], v[28:29], v[20:21]
	v_add_f64_e64 v[84:85], v[114:115], -v[90:91]
	v_add_f64_e32 v[120:121], v[34:35], v[82:83]
	v_add_f64_e32 v[34:35], v[26:27], v[18:19]
	;; [unrolled: 1-line block ×4, first 2 shown]
	v_mul_f64_e32 v[174:175], s[14:15], v[38:39]
	v_fma_f64 v[122:123], v[176:177], s[10:11], v[200:201]
	v_add_f64_e32 v[176:177], v[106:107], v[114:115]
	v_fma_f64 v[140:141], v[180:181], s[10:11], v[140:141]
	v_fma_f64 v[14:15], v[180:181], s[10:11], v[14:15]
	v_fma_f64 v[24:25], v[204:205], s[4:5], v[24:25]
	v_fma_f64 v[138:139], v[6:7], s[4:5], v[138:139]
	v_fma_f64 v[4:5], v[6:7], s[14:15], v[4:5]
	v_fma_f64 v[6:7], v[6:7], s[12:13], v[132:133]
	v_fma_f64 v[132:133], v[204:205], s[14:15], v[208:209]
	v_fma_f64 v[204:205], v[50:51], s[4:5], v[212:213]
	v_mul_f64_e32 v[180:181], s[12:13], v[16:17]
	v_mul_f64_e32 v[16:17], s[16:17], v[16:17]
	v_add_f64_e32 v[208:209], v[108:109], v[116:117]
	v_add_f64_e64 v[212:213], v[114:115], -v[54:55]
	v_add_f64_e32 v[176:177], v[176:177], v[90:91]
	v_fma_f64 v[24:25], v[198:199], s[10:11], v[24:25]
	v_fma_f64 v[138:139], v[8:9], s[10:11], v[138:139]
	v_fma_f64 v[206:207], v[8:9], s[10:11], v[4:5]
	v_fma_f64 v[6:7], v[50:51], s[14:15], v[6:7]
	v_fma_f64 v[132:133], v[198:199], s[10:11], v[132:133]
	v_mul_f64_e32 v[198:199], s[14:15], v[22:23]
	v_mul_f64_e32 v[22:23], s[18:19], v[22:23]
	v_add_f64_e32 v[4:5], v[90:91], v[98:99]
	v_add_f64_e32 v[8:9], v[92:93], v[100:101]
	v_fma_f64 v[200:201], v[178:179], s[10:11], v[204:205]
	v_fma_f64 v[204:205], v[140:141], s[10:11], v[2:3]
	;; [unrolled: 1-line block ×3, first 2 shown]
	v_add_f64_e32 v[202:203], v[114:115], v[54:55]
	v_fma_f64 v[180:181], v[14:15], s[16:17], v[180:181]
	v_fma_f64 v[16:17], v[14:15], s[0:1], v[16:17]
	v_add_f64_e64 v[90:91], v[90:91], -v[114:115]
	v_add_f64_e64 v[114:115], v[98:99], -v[54:55]
	v_fma_f64 v[178:179], v[178:179], s[10:11], v[6:7]
	v_mul_f64_e32 v[50:51], s[4:5], v[132:133]
	v_fma_f64 v[132:133], v[132:133], s[20:21], v[174:175]
	v_fma_f64 v[174:175], v[236:237], -0.5, v[102:103]
	v_fma_f64 v[198:199], v[24:25], s[18:19], v[198:199]
	v_fma_f64 v[24:25], v[24:25], s[4:5], v[22:23]
	v_fma_f64 v[80:81], v[4:5], -0.5, v[106:107]
	v_fma_f64 v[218:219], v[8:9], -0.5, v[108:109]
	;; [unrolled: 1-line block ×3, first 2 shown]
	v_fma_f64 v[236:237], v[46:47], s[0:1], v[52:53]
	v_fma_f64 v[238:239], v[86:87], s[12:13], v[104:105]
	v_add_f64_e64 v[6:7], v[26:27], -v[18:19]
	v_add_f64_e64 v[8:9], v[28:29], -v[20:21]
	v_add_f64_e32 v[20:21], v[138:139], v[140:141]
	v_add_f64_e64 v[12:13], v[138:139], -v[140:141]
	v_add_f64_e32 v[26:27], v[124:125], v[180:181]
	v_add_f64_e64 v[14:15], v[124:125], -v[180:181]
	v_fma_f64 v[82:83], v[202:203], -0.5, v[106:107]
	v_fma_f64 v[52:53], v[46:47], s[12:13], v[52:53]
	v_add_f64_e64 v[106:107], v[92:93], -v[116:117]
	v_add_f64_e64 v[124:125], v[56:57], -v[100:101]
	v_add_f64_e32 v[18:19], v[184:185], v[204:205]
	v_add_f64_e64 v[10:11], v[184:185], -v[204:205]
	v_fma_f64 v[202:203], v[188:189], s[0:1], v[228:229]
	v_add_f64_e32 v[90:91], v[90:91], v[114:115]
	v_fma_f64 v[114:115], v[74:75], s[0:1], v[78:79]
	v_fma_f64 v[78:79], v[74:75], s[12:13], v[78:79]
	v_add_f64_e32 v[28:29], v[206:207], v[16:17]
	v_add_f64_e64 v[16:17], v[206:207], -v[16:17]
	v_fma_f64 v[50:51], v[38:39], s[20:21], v[50:51]
	v_add_f64_e32 v[38:39], v[116:117], v[56:57]
	v_fma_f64 v[220:221], v[192:193], s[12:13], v[174:175]
	v_add_f64_e64 v[2:3], v[122:123], -v[132:133]
	v_add_f64_e32 v[30:31], v[130:131], v[198:199]
	v_add_f64_e32 v[32:33], v[178:179], v[24:25]
	v_add_f64_e64 v[22:23], v[130:131], -v[198:199]
	v_add_f64_e64 v[24:25], v[178:179], -v[24:25]
	;; [unrolled: 1-line block ×3, first 2 shown]
	v_fma_f64 v[138:139], v[210:211], s[12:13], v[80:81]
	v_fma_f64 v[178:179], v[212:213], s[12:13], v[218:219]
	v_fma_f64 v[184:185], v[86:87], s[4:5], v[236:237]
	v_fma_f64 v[96:97], v[64:65], s[0:1], v[102:103]
	v_fma_f64 v[186:187], v[46:47], s[4:5], v[238:239]
	v_fma_f64 v[174:175], v[192:193], s[0:1], v[174:175]
	v_fma_f64 v[102:103], v[64:65], s[12:13], v[102:103]
	v_fma_f64 v[80:81], v[210:211], s[0:1], v[80:81]
	v_fma_f64 v[52:53], v[86:87], s[14:15], v[52:53]
	v_fma_f64 v[198:199], v[230:231], s[0:1], v[222:223]
	v_fma_f64 v[114:115], v[58:59], s[4:5], v[114:115]
	v_add_f64_e32 v[40:41], v[200:201], v[50:51]
	v_fma_f64 v[108:109], v[38:39], -0.5, v[108:109]
	v_add_f64_e32 v[38:39], v[122:123], v[132:133]
	v_add_f64_e64 v[4:5], v[200:201], -v[50:51]
	v_fma_f64 v[50:51], v[86:87], s[0:1], v[104:105]
	v_add_f64_e64 v[104:105], v[116:117], -v[92:93]
	v_add_f64_e64 v[116:117], v[92:93], -v[100:101]
	;; [unrolled: 1-line block ×3, first 2 shown]
	v_fma_f64 v[132:133], v[212:213], s[0:1], v[218:219]
	v_fma_f64 v[180:181], v[64:65], s[14:15], v[220:221]
	v_add_f64_e32 v[92:93], v[208:209], v[92:93]
	v_fma_f64 v[86:87], v[234:235], s[0:1], v[224:225]
	v_add_f64_e32 v[106:107], v[106:107], v[130:131]
	v_add_f64_e32 v[98:99], v[176:177], v[98:99]
	v_fma_f64 v[176:177], v[42:43], s[0:1], v[226:227]
	v_fma_f64 v[200:201], v[188:189], s[12:13], v[228:229]
	;; [unrolled: 1-line block ×13, first 2 shown]
	v_add_f64_e32 v[104:105], v[104:105], v[124:125]
	v_fma_f64 v[124:125], v[116:117], s[14:15], v[138:139]
	v_add_f64_e32 v[84:85], v[84:85], v[122:123]
	v_fma_f64 v[122:123], v[214:215], s[4:5], v[132:133]
	v_fma_f64 v[130:131], v[116:117], s[0:1], v[82:83]
	;; [unrolled: 1-line block ×6, first 2 shown]
	v_add_f64_e32 v[92:93], v[92:93], v[100:101]
	v_add_f64_e32 v[100:101], v[126:127], v[134:135]
	v_fma_f64 v[126:127], v[194:195], s[12:13], v[216:217]
	v_fma_f64 v[134:135], v[194:195], s[0:1], v[216:217]
	;; [unrolled: 1-line block ×11, first 2 shown]
	v_mul_f64_e32 v[110:111], s[10:11], v[186:187]
	v_add_f64_e32 v[112:113], v[196:197], v[252:253]
	v_fma_f64 v[70:71], v[194:195], s[4:5], v[70:71]
	v_mul_f64_e32 v[76:77], s[14:15], v[48:49]
	v_mul_f64_e32 v[48:49], s[18:19], v[48:49]
	v_fma_f64 v[58:59], v[58:59], s[14:15], v[78:79]
	v_add_f64_e32 v[98:99], v[98:99], v[54:55]
	v_mul_u32_u24_e32 v54, 10, v0
	v_fma_f64 v[132:133], v[212:213], s[4:5], v[140:141]
	v_fma_f64 v[108:109], v[212:213], s[14:15], v[108:109]
	;; [unrolled: 1-line block ×13, first 2 shown]
	v_mul_f64_e32 v[176:177], s[4:5], v[180:181]
	v_lshl_add_u32 v192, v54, 4, 0
	v_fma_f64 v[126:127], v[60:61], s[14:15], v[126:127]
	v_fma_f64 v[60:61], v[60:61], s[4:5], v[134:135]
	;; [unrolled: 1-line block ×5, first 2 shown]
	v_add_f64_e32 v[74:75], v[246:247], v[254:255]
	v_fma_f64 v[80:81], v[84:85], s[10:11], v[80:81]
	v_fma_f64 v[52:53], v[128:129], s[10:11], v[52:53]
	;; [unrolled: 1-line block ×3, first 2 shown]
	ds_store_b128 v192, v[34:37]
	ds_store_b128 v192, v[38:41] offset:16
	v_add_f64_e32 v[54:55], v[248:249], v[118:119]
	ds_store_b128 v192, v[18:21] offset:32
	ds_store_b128 v192, v[26:29] offset:48
	;; [unrolled: 1-line block ×8, first 2 shown]
	v_mul_i32_i24_e32 v2, 10, v148
	v_and_b32_e32 v192, 0xffff, v170
	v_fma_f64 v[48:49], v[64:65], s[4:5], v[48:49]
	v_add_f64_e64 v[34:35], v[120:121], -v[98:99]
	v_fma_f64 v[132:133], v[106:107], s[10:11], v[132:133]
	v_fma_f64 v[106:107], v[106:107], s[10:11], v[108:109]
	v_fma_f64 v[104:105], v[104:105], s[10:11], v[140:141]
	v_add_f64_e32 v[108:109], v[232:233], v[190:191]
	v_fma_f64 v[138:139], v[188:189], s[14:15], v[178:179]
	v_mul_f64_e32 v[140:141], s[14:15], v[184:185]
	v_mul_f64_e32 v[178:179], s[12:13], v[186:187]
	;; [unrolled: 1-line block ×6, first 2 shown]
	v_fma_f64 v[130:131], v[90:91], s[10:11], v[130:131]
	v_fma_f64 v[82:83], v[90:91], s[10:11], v[82:83]
	v_add_f64_e32 v[190:191], v[92:93], v[56:57]
	v_fma_f64 v[92:93], v[128:129], s[10:11], v[136:137]
	v_fma_f64 v[136:137], v[184:185], s[20:21], v[176:177]
	;; [unrolled: 1-line block ×7, first 2 shown]
	v_add_f64_e32 v[56:57], v[250:251], v[94:95]
	v_mul_f64_e32 v[90:91], s[12:13], v[132:133]
	v_mul_f64_e32 v[132:133], s[10:11], v[132:133]
	;; [unrolled: 1-line block ×6, first 2 shown]
	v_fma_f64 v[128:129], v[180:181], s[20:21], v[140:141]
	v_fma_f64 v[140:141], v[96:97], s[10:11], v[178:179]
	;; [unrolled: 1-line block ×16, first 2 shown]
	v_add_f64_e64 v[60:61], v[250:251], -v[94:95]
	v_add_f64_e32 v[94:95], v[120:121], v[98:99]
	v_add_f64_e64 v[58:59], v[248:249], -v[118:119]
	v_add_f64_e64 v[36:37], v[150:151], -v[190:191]
	v_fma_f64 v[176:177], v[130:131], s[10:11], v[90:91]
	v_fma_f64 v[130:131], v[130:131], s[0:1], v[132:133]
	v_fma_f64 v[132:133], v[82:83], s[16:17], v[188:189]
	v_fma_f64 v[178:179], v[82:83], s[0:1], v[106:107]
	v_fma_f64 v[184:185], v[80:81], s[18:19], v[84:85]
	v_fma_f64 v[186:187], v[80:81], s[4:5], v[104:105]
	v_and_b32_e32 v188, 0xff, v0
	v_add_f64_e64 v[66:67], v[50:51], -v[128:129]
	v_add_f64_e64 v[68:69], v[116:117], -v[136:137]
	v_add_f64_e32 v[70:71], v[52:53], v[140:141]
	v_add_f64_e32 v[72:73], v[88:89], v[96:97]
	v_add_f64_e64 v[76:77], v[88:89], -v[96:97]
	v_add_f64_e32 v[78:79], v[92:93], v[44:45]
	v_add_f64_e32 v[80:81], v[42:43], v[46:47]
	v_add_f64_e64 v[82:83], v[92:93], -v[44:45]
	v_add_f64_e64 v[84:85], v[42:43], -v[46:47]
	v_add_f64_e32 v[86:87], v[100:101], v[108:109]
	v_add_f64_e32 v[88:89], v[102:103], v[48:49]
	v_add_f64_e64 v[92:93], v[102:103], -v[48:49]
	v_add_f64_e32 v[98:99], v[110:111], v[112:113]
	v_add_f64_e64 v[38:39], v[110:111], -v[112:113]
	v_add_f64_e64 v[40:41], v[114:115], -v[122:123]
	v_add_f64_e32 v[62:63], v[50:51], v[128:129]
	v_add_f64_e32 v[64:65], v[116:117], v[136:137]
	v_add_f64_e64 v[74:75], v[52:53], -v[140:141]
	v_add_f64_e64 v[90:91], v[100:101], -v[108:109]
	v_add_f64_e32 v[96:97], v[150:151], v[190:191]
	v_add_f64_e32 v[100:101], v[114:115], v[122:123]
	v_mul_lo_u16 v6, 0xcd, v188
	v_and_b32_e32 v189, 0xff, v146
	v_mul_i32_i24_e32 v114, 10, v146
	v_and_b32_e32 v190, 0xffff, v148
	v_and_b32_e32 v191, 0xffff, v172
	v_lshrrev_b16 v202, 11, v6
	s_mov_b32 s0, 0xe8584caa
	s_mov_b32 s1, 0xbfebb67a
	;; [unrolled: 1-line block ×3, first 2 shown]
	s_wait_alu 0xfffe
	s_mov_b32 s4, s0
	v_add_f64_e32 v[102:103], v[134:135], v[176:177]
	v_add_f64_e32 v[104:105], v[174:175], v[130:131]
	v_add_f64_e64 v[42:43], v[138:139], -v[132:133]
	v_add_f64_e64 v[44:45], v[124:125], -v[178:179]
	v_add_f64_e32 v[110:111], v[126:127], v[184:185]
	v_add_f64_e32 v[112:113], v[180:181], v[186:187]
	;; [unrolled: 1-line block ×4, first 2 shown]
	v_add_f64_e64 v[50:51], v[134:135], -v[176:177]
	v_add_f64_e64 v[52:53], v[174:175], -v[130:131]
	;; [unrolled: 1-line block ×4, first 2 shown]
	v_mul_lo_u16 v3, v202, 10
	v_lshl_add_u32 v185, v2, 4, 0
	v_lshl_add_u32 v186, v114, 4, 0
	ds_store_b128 v186, v[54:57]
	ds_store_b128 v186, v[62:65] offset:16
	v_sub_nc_u16 v2, v0, v3
	v_mul_lo_u16 v3, 0xcd, v189
	ds_store_b128 v186, v[70:73] offset:32
	ds_store_b128 v186, v[78:81] offset:48
	;; [unrolled: 1-line block ×6, first 2 shown]
	v_and_b32_e32 v199, 0xff, v2
	v_lshrrev_b16 v201, 11, v3
	ds_store_b128 v186, v[82:85] offset:128
	ds_store_b128 v186, v[90:93] offset:144
	ds_store_b128 v185, v[94:97]
	ds_store_b128 v185, v[98:101] offset:16
	ds_store_b128 v185, v[102:105] offset:32
	ds_store_b128 v185, v[106:109] offset:48
	v_mul_u32_u24_e32 v2, 5, v199
	v_mul_lo_u16 v3, v201, 10
	ds_store_b128 v185, v[110:113] offset:64
	ds_store_b128 v185, v[34:37] offset:80
	;; [unrolled: 1-line block ×6, first 2 shown]
	v_lshlrev_b32_e32 v2, 4, v2
	global_wb scope:SCOPE_SE
	s_wait_dscnt 0x0
	s_barrier_signal -1
	s_barrier_wait -1
	global_inv scope:SCOPE_SE
	s_clause 0x1
	global_load_b128 v[46:49], v2, s[8:9]
	global_load_b128 v[42:45], v2, s[8:9] offset:16
	v_sub_nc_u16 v3, v146, v3
	s_clause 0x1
	global_load_b128 v[38:41], v2, s[8:9] offset:32
	global_load_b128 v[34:37], v2, s[8:9] offset:48
	v_lshl_add_u32 v187, v168, 4, 0
	v_lshl_add_u32 v184, v158, 4, 0
	v_and_b32_e32 v200, 0xff, v3
	s_delay_alu instid0(VALU_DEP_1) | instskip(NEXT) | instid1(VALU_DEP_1)
	v_mul_u32_u24_e32 v3, 5, v200
	v_lshlrev_b32_e32 v3, 4, v3
	s_clause 0x1
	global_load_b128 v[98:101], v2, s[8:9] offset:64
	global_load_b128 v[90:93], v3, s[8:9]
	v_mul_u32_u24_e32 v2, 0xcccd, v190
	s_clause 0x3
	global_load_b128 v[102:105], v3, s[8:9] offset:16
	global_load_b128 v[94:97], v3, s[8:9] offset:32
	;; [unrolled: 1-line block ×4, first 2 shown]
	v_mul_u32_u24_e32 v3, 0xcccd, v191
	v_lshrrev_b32_e32 v195, 19, v2
	s_delay_alu instid0(VALU_DEP_2) | instskip(NEXT) | instid1(VALU_DEP_2)
	v_lshrrev_b32_e32 v197, 19, v3
	v_mul_lo_u16 v2, v195, 10
	s_delay_alu instid0(VALU_DEP_2) | instskip(NEXT) | instid1(VALU_DEP_2)
	v_mul_lo_u16 v3, v197, 10
	v_sub_nc_u16 v2, v148, v2
	s_delay_alu instid0(VALU_DEP_2) | instskip(NEXT) | instid1(VALU_DEP_2)
	v_sub_nc_u16 v3, v172, v3
	v_and_b32_e32 v196, 0xffff, v2
	s_delay_alu instid0(VALU_DEP_2) | instskip(NEXT) | instid1(VALU_DEP_2)
	v_and_b32_e32 v198, 0xffff, v3
	v_mul_u32_u24_e32 v2, 5, v196
	v_mul_u32_u24_e32 v3, 0xcccd, v192
	s_delay_alu instid0(VALU_DEP_3) | instskip(NEXT) | instid1(VALU_DEP_3)
	v_mul_u32_u24_e32 v4, 5, v198
	v_lshlrev_b32_e32 v2, 4, v2
	s_delay_alu instid0(VALU_DEP_3) | instskip(NEXT) | instid1(VALU_DEP_3)
	v_lshrrev_b32_e32 v193, 19, v3
	v_lshlrev_b32_e32 v6, 4, v4
	s_clause 0x5
	global_load_b128 v[22:25], v2, s[8:9]
	global_load_b128 v[14:17], v2, s[8:9] offset:16
	global_load_b128 v[18:21], v2, s[8:9] offset:32
	;; [unrolled: 1-line block ×4, first 2 shown]
	global_load_b128 v[66:69], v6, s[8:9]
	v_mul_lo_u16 v2, v193, 10
	global_load_b128 v[62:65], v6, s[8:9] offset:16
	v_sub_nc_u16 v2, v170, v2
	s_delay_alu instid0(VALU_DEP_1) | instskip(SKIP_4) | instid1(VALU_DEP_1)
	v_and_b32_e32 v194, 0xffff, v2
	s_clause 0x1
	global_load_b128 v[58:61], v6, s[8:9] offset:32
	global_load_b128 v[2:5], v6, s[8:9] offset:48
	v_mul_u32_u24_e32 v7, 5, v194
	v_lshlrev_b32_e32 v54, 4, v7
	s_clause 0x5
	global_load_b128 v[6:9], v6, s[8:9] offset:64
	global_load_b128 v[10:13], v54, s[8:9]
	global_load_b128 v[26:29], v54, s[8:9] offset:16
	global_load_b128 v[30:33], v54, s[8:9] offset:32
	;; [unrolled: 1-line block ×4, first 2 shown]
	ds_load_b128 v[126:129], v187
	ds_load_b128 v[122:125], v184
	ds_load_b128 v[118:121], v182 offset:30720
	ds_load_b128 v[114:117], v182 offset:40960
	;; [unrolled: 1-line block ×9, first 2 shown]
	ds_load_b128 v[207:210], v182
	ds_load_b128 v[211:214], v182 offset:53248
	ds_load_b128 v[215:218], v182 offset:18432
	s_wait_loadcnt_dscnt 0x180d
	v_mul_f64_e32 v[174:175], v[128:129], v[48:49]
	v_mul_f64_e32 v[176:177], v[126:127], v[48:49]
	s_wait_loadcnt_dscnt 0x170c
	v_mul_f64_e32 v[48:49], v[124:125], v[44:45]
	v_mul_f64_e32 v[44:45], v[122:123], v[44:45]
	;; [unrolled: 3-line block ×8, first 2 shown]
	s_wait_loadcnt 0x10
	v_mul_f64_e32 v[227:228], v[132:133], v[88:89]
	v_mul_f64_e32 v[229:230], v[130:131], v[88:89]
	s_wait_loadcnt_dscnt 0xf01
	v_mul_f64_e32 v[233:234], v[213:214], v[84:85]
	v_mul_f64_e32 v[235:236], v[211:212], v[84:85]
	v_fma_f64 v[174:175], v[126:127], v[46:47], v[174:175]
	v_fma_f64 v[176:177], v[128:129], v[46:47], -v[176:177]
	ds_load_b128 v[126:129], v182 offset:34816
	v_fma_f64 v[122:123], v[122:123], v[42:43], v[48:49]
	v_fma_f64 v[124:125], v[124:125], v[42:43], -v[44:45]
	ds_load_b128 v[42:45], v182 offset:14336
	ds_load_b128 v[46:49], v182 offset:24576
	v_fma_f64 v[178:179], v[118:119], v[38:39], v[178:179]
	v_fma_f64 v[180:181], v[120:121], v[38:39], -v[180:181]
	ds_load_b128 v[118:121], v182 offset:55296
	v_fma_f64 v[231:232], v[114:115], v[34:35], v[40:41]
	ds_load_b128 v[38:41], v182 offset:16384
	v_fma_f64 v[115:116], v[116:117], v[34:35], -v[36:37]
	ds_load_b128 v[34:37], v182 offset:45056
	v_and_b32_e32 v114, 0xffff, v201
	v_fma_f64 v[150:151], v[110:111], v[98:99], v[150:151]
	v_fma_f64 v[237:238], v[112:113], v[98:99], -v[100:101]
	ds_load_b128 v[96:99], v182 offset:47104
	v_and_b32_e32 v110, 0xffff, v202
	s_wait_loadcnt_dscnt 0xe05
	v_mul_f64_e32 v[112:113], v[44:45], v[24:25]
	v_mul_f64_e32 v[239:240], v[42:43], v[24:25]
	v_fma_f64 v[24:25], v[106:107], v[90:91], v[219:220]
	v_fma_f64 v[106:107], v[108:109], v[90:91], -v[92:93]
	s_wait_loadcnt_dscnt 0xd04
	v_mul_f64_e32 v[108:109], v[48:49], v[16:17]
	v_fma_f64 v[138:139], v[138:139], v[102:103], v[221:222]
	v_fma_f64 v[104:105], v[140:141], v[102:103], -v[104:105]
	s_wait_loadcnt 0xc
	v_mul_f64_e32 v[140:141], v[128:129], v[20:21]
	v_fma_f64 v[134:135], v[134:135], v[94:95], v[223:224]
	s_wait_loadcnt_dscnt 0xb01
	v_mul_f64_e32 v[221:222], v[36:37], v[76:77]
	v_mul_f64_e32 v[76:77], v[34:35], v[76:77]
	s_wait_loadcnt 0xa
	v_mul_f64_e32 v[223:224], v[120:121], v[72:73]
	v_mul_f64_e32 v[72:73], v[118:119], v[72:73]
	ds_load_b128 v[88:91], v182 offset:26624
	v_mul_f64_e32 v[219:220], v[126:127], v[20:21]
	v_fma_f64 v[136:137], v[136:137], v[94:95], -v[225:226]
	v_fma_f64 v[130:131], v[130:131], v[86:87], v[227:228]
	v_fma_f64 v[132:133], v[132:133], v[86:87], -v[229:230]
	ds_load_b128 v[84:87], v182 offset:36864
	ds_load_b128 v[92:95], v182 offset:57344
	;; [unrolled: 1-line block ×3, first 2 shown]
	v_fma_f64 v[211:212], v[211:212], v[82:83], v[233:234]
	v_fma_f64 v[82:83], v[213:214], v[82:83], -v[235:236]
	s_wait_loadcnt 0x9
	v_mul_f64_e32 v[213:214], v[40:41], v[68:69]
	v_mul_f64_e32 v[68:69], v[38:39], v[68:69]
	v_mul_f64_e32 v[16:17], v[46:47], v[16:17]
	s_wait_loadcnt_dscnt 0x604
	v_mul_f64_e32 v[225:226], v[98:99], v[4:5]
	v_mul_f64_e32 v[4:5], v[96:97], v[4:5]
	s_wait_loadcnt 0x4
	v_mul_f64_e32 v[227:228], v[215:216], v[12:13]
	v_lshl_add_u32 v111, v172, 4, 0
	s_wait_dscnt 0x3
	v_mul_f64_e32 v[201:202], v[90:91], v[64:65]
	v_mul_f64_e32 v[64:65], v[88:89], v[64:65]
	v_fma_f64 v[42:43], v[42:43], v[22:23], v[112:113]
	v_fma_f64 v[44:45], v[44:45], v[22:23], -v[239:240]
	ds_load_b128 v[20:23], v182 offset:59392
	s_wait_loadcnt_dscnt 0x201
	v_mul_f64_e32 v[229:230], v[102:103], v[32:33]
	v_fma_f64 v[46:47], v[46:47], v[14:15], v[108:109]
	v_mul_f64_e32 v[108:109], v[86:87], v[60:61]
	v_mul_f64_e32 v[60:61], v[84:85], v[60:61]
	v_fma_f64 v[126:127], v[126:127], v[18:19], v[140:141]
	v_mul_f64_e32 v[140:141], v[94:95], v[8:9]
	v_mul_f64_e32 v[8:9], v[92:93], v[8:9]
	v_fma_f64 v[221:222], v[34:35], v[74:75], v[221:222]
	v_fma_f64 v[74:75], v[36:37], v[74:75], -v[76:77]
	v_mul_f64_e32 v[76:77], v[80:81], v[28:29]
	v_mul_f64_e32 v[28:29], v[78:79], v[28:29]
	;; [unrolled: 1-line block ×3, first 2 shown]
	v_fma_f64 v[117:118], v[118:119], v[70:71], v[223:224]
	v_fma_f64 v[70:71], v[120:121], v[70:71], -v[72:73]
	v_fma_f64 v[128:129], v[128:129], v[18:19], -v[219:220]
	v_mul_f64_e32 v[219:220], v[217:218], v[12:13]
	s_wait_loadcnt 0x1
	v_mul_f64_e32 v[72:73], v[205:206], v[52:53]
	v_mul_f64_e32 v[52:53], v[203:204], v[52:53]
	v_mul_u32_u24_e32 v12, 0x3c0, v110
	s_wait_loadcnt_dscnt 0x0
	v_mul_f64_e32 v[119:120], v[22:23], v[56:57]
	v_mul_f64_e32 v[56:57], v[20:21], v[56:57]
	v_fma_f64 v[213:214], v[38:39], v[66:67], v[213:214]
	v_fma_f64 v[40:41], v[40:41], v[66:67], -v[68:69]
	v_add_f64_e32 v[66:67], v[180:181], v[237:238]
	v_fma_f64 v[48:49], v[48:49], v[14:15], -v[16:17]
	v_mul_u32_u24_e32 v13, 0x3c0, v114
	v_lshlrev_b32_e32 v14, 4, v199
	v_lshlrev_b32_e32 v15, 4, v200
	v_mad_i32_i24 v114, 0xffffff70, v146, v186
	v_mad_i32_i24 v113, 0xffffff70, v148, v185
	v_fma_f64 v[68:69], v[88:89], v[62:63], v[201:202]
	v_fma_f64 v[62:63], v[90:91], v[62:63], -v[64:65]
	v_add_f64_e32 v[88:89], v[174:175], v[178:179]
	v_add_f64_e32 v[90:91], v[176:177], v[180:181]
	v_add3_u32 v110, 0, v12, v14
	v_add3_u32 v239, 0, v13, v15
	ds_load_b128 v[12:15], v114
	ds_load_b128 v[16:19], v113
	v_lshl_add_u32 v112, v170, 4, 0
	ds_load_b128 v[32:35], v111
	ds_load_b128 v[36:39], v112
	v_fma_f64 v[64:65], v[84:85], v[58:59], v[108:109]
	v_fma_f64 v[58:59], v[86:87], v[58:59], -v[60:61]
	v_fma_f64 v[60:61], v[96:97], v[2:3], v[225:226]
	v_fma_f64 v[2:3], v[98:99], v[2:3], -v[4:5]
	v_fma_f64 v[4:5], v[92:93], v[6:7], v[140:141]
	v_fma_f64 v[6:7], v[94:95], v[6:7], -v[8:9]
	v_fma_f64 v[76:77], v[78:79], v[26:27], v[76:77]
	v_fma_f64 v[26:27], v[80:81], v[26:27], -v[28:29]
	v_fma_f64 v[28:29], v[100:101], v[30:31], v[229:230]
	v_fma_f64 v[30:31], v[102:103], v[30:31], -v[233:234]
	v_add_f64_e32 v[80:81], v[178:179], v[150:151]
	v_add_f64_e64 v[84:85], v[178:179], -v[150:151]
	v_fma_f64 v[8:9], v[215:216], v[10:11], v[219:220]
	v_fma_f64 v[10:11], v[217:218], v[10:11], -v[227:228]
	v_fma_f64 v[72:73], v[203:204], v[50:51], v[72:73]
	v_fma_f64 v[50:51], v[205:206], v[50:51], -v[52:53]
	v_fma_f64 v[22:23], v[22:23], v[54:55], -v[56:57]
	v_add_f64_e32 v[56:57], v[136:137], v[82:83]
	v_fma_f64 v[20:21], v[20:21], v[54:55], v[119:120]
	v_fma_f64 v[66:67], v[66:67], -0.5, v[176:177]
	v_add_f64_e32 v[52:53], v[122:123], v[231:232]
	v_add_f64_e32 v[54:55], v[124:125], v[115:116]
	;; [unrolled: 1-line block ×6, first 2 shown]
	v_add_f64_e64 v[98:99], v[124:125], -v[115:116]
	v_add_f64_e64 v[102:103], v[122:123], -v[231:232]
	v_add_f64_e32 v[108:109], v[24:25], v[134:135]
	v_add_f64_e64 v[119:120], v[180:181], -v[237:238]
	v_add_f64_e32 v[123:124], v[134:135], v[211:212]
	;; [unrolled: 2-line block ×3, first 2 shown]
	s_wait_dscnt 0x3
	v_add_f64_e32 v[96:97], v[12:13], v[138:139]
	v_add_f64_e32 v[100:101], v[14:15], v[104:105]
	;; [unrolled: 1-line block ×4, first 2 shown]
	v_add_f64_e64 v[136:137], v[136:137], -v[82:83]
	v_add_f64_e32 v[176:177], v[48:49], v[74:75]
	v_add_f64_e32 v[178:179], v[42:43], v[126:127]
	v_add_f64_e32 v[199:200], v[68:69], v[60:61]
	v_add_f64_e32 v[223:224], v[126:127], v[117:118]
	v_add_f64_e64 v[125:126], v[126:127], -v[117:118]
	v_add_f64_e32 v[219:220], v[58:59], v[6:7]
	v_add_f64_e32 v[227:228], v[44:45], v[128:129]
	;; [unrolled: 1-line block ×4, first 2 shown]
	s_wait_dscnt 0x2
	v_add_f64_e32 v[205:206], v[16:17], v[46:47]
	v_fma_f64 v[80:81], v[80:81], -0.5, v[174:175]
	v_add_f64_e64 v[138:139], v[138:139], -v[130:131]
	v_add_f64_e32 v[150:151], v[8:9], v[28:29]
	v_add_f64_e64 v[104:105], v[104:105], -v[132:133]
	v_add_f64_e32 v[201:202], v[62:63], v[2:3]
	;; [unrolled: 2-line block ×3, first 2 shown]
	v_fma_f64 v[56:57], v[56:57], -0.5, v[106:107]
	v_add_f64_e32 v[106:107], v[64:65], v[4:5]
	s_wait_alu 0xfffe
	v_fma_f64 v[174:175], v[84:85], s[4:5], v[66:67]
	v_fma_f64 v[66:67], v[84:85], s[0:1], v[66:67]
	v_add_f64_e64 v[64:65], v[64:65], -v[4:5]
	v_fma_f64 v[52:53], v[52:53], -0.5, v[207:208]
	v_fma_f64 v[54:55], v[54:55], -0.5, v[209:210]
	v_add_f64_e32 v[207:208], v[26:27], v[50:51]
	v_add_f64_e32 v[209:210], v[28:29], v[20:21]
	;; [unrolled: 1-line block ×3, first 2 shown]
	s_wait_dscnt 0x0
	v_add_f64_e32 v[115:116], v[38:39], v[26:27]
	v_add_f64_e64 v[28:29], v[28:29], -v[20:21]
	v_add_f64_e32 v[26:27], v[90:91], v[237:238]
	v_fma_f64 v[90:91], v[92:93], -0.5, v[12:13]
	v_fma_f64 v[14:15], v[94:95], -0.5, v[14:15]
	;; [unrolled: 1-line block ×3, first 2 shown]
	v_add_f64_e32 v[180:181], v[10:11], v[30:31]
	v_fma_f64 v[24:25], v[123:124], -0.5, v[24:25]
	v_add_f64_e32 v[84:85], v[40:41], v[58:59]
	v_add_f64_e32 v[78:79], v[78:79], v[231:232]
	;; [unrolled: 1-line block ×5, first 2 shown]
	v_fma_f64 v[121:122], v[140:141], -0.5, v[16:17]
	v_add_f64_e32 v[203:204], v[18:19], v[48:49]
	v_add_f64_e32 v[215:216], v[32:33], v[68:69]
	v_fma_f64 v[12:13], v[219:220], -0.5, v[40:41]
	v_add_f64_e32 v[40:41], v[96:97], v[130:131]
	v_add_f64_e32 v[96:97], v[108:109], v[211:212]
	;; [unrolled: 1-line block ×3, first 2 shown]
	v_add_f64_e64 v[127:128], v[128:129], -v[70:71]
	v_fma_f64 v[100:101], v[119:120], s[0:1], v[80:81]
	v_fma_f64 v[80:81], v[119:120], s[4:5], v[80:81]
	v_add_f64_e64 v[58:59], v[58:59], -v[6:7]
	v_add_f64_e32 v[233:234], v[76:77], v[72:73]
	v_add_f64_e64 v[30:31], v[30:31], -v[22:23]
	v_fma_f64 v[129:130], v[176:177], -0.5, v[18:19]
	v_fma_f64 v[10:11], v[225:226], -0.5, v[10:11]
	v_fma_f64 v[94:95], v[134:135], s[4:5], v[56:57]
	v_fma_f64 v[16:17], v[134:135], s[0:1], v[56:57]
	v_mul_f64_e32 v[108:109], s[0:1], v[174:175]
	v_mul_f64_e32 v[119:120], 0.5, v[174:175]
	v_mul_f64_e32 v[123:124], s[0:1], v[66:67]
	v_mul_f64_e32 v[66:67], -0.5, v[66:67]
	v_fma_f64 v[131:132], v[199:200], -0.5, v[32:33]
	v_fma_f64 v[18:19], v[223:224], -0.5, v[42:43]
	;; [unrolled: 1-line block ×4, first 2 shown]
	v_add_f64_e32 v[115:116], v[115:116], v[50:51]
	v_fma_f64 v[50:51], v[98:99], s[0:1], v[52:53]
	v_fma_f64 v[52:53], v[98:99], s[4:5], v[52:53]
	v_add_f64_e64 v[76:77], v[76:77], -v[72:73]
	v_add_f64_e64 v[48:49], v[48:49], -v[74:75]
	v_fma_f64 v[133:134], v[125:126], s[4:5], v[44:45]
	v_fma_f64 v[38:39], v[125:126], s[0:1], v[44:45]
	v_fma_f64 v[44:45], v[209:210], -0.5, v[8:9]
	v_add_f64_e32 v[125:126], v[150:151], v[20:21]
	v_fma_f64 v[174:175], v[136:137], s[0:1], v[24:25]
	v_fma_f64 v[150:151], v[102:103], s[4:5], v[54:55]
	;; [unrolled: 1-line block ×3, first 2 shown]
	v_add_f64_e64 v[46:47], v[46:47], -v[221:222]
	v_add_f64_e64 v[62:63], v[62:63], -v[2:3]
	;; [unrolled: 1-line block ×3, first 2 shown]
	v_add_f64_e32 v[117:118], v[178:179], v[117:118]
	v_fma_f64 v[20:21], v[64:65], s[4:5], v[12:13]
	v_fma_f64 v[64:65], v[64:65], s[0:1], v[12:13]
	v_fma_f64 v[34:35], v[201:202], -0.5, v[34:35]
	v_add_f64_e32 v[56:57], v[203:204], v[74:75]
	v_add_f64_e32 v[74:75], v[205:206], v[221:222]
	;; [unrolled: 1-line block ×6, first 2 shown]
	v_fma_f64 v[36:37], v[233:234], -0.5, v[36:37]
	v_add_f64_e32 v[2:3], v[78:79], v[88:89]
	v_fma_f64 v[98:99], v[28:29], s[4:5], v[10:11]
	v_mul_f64_e32 v[176:177], s[0:1], v[94:95]
	v_mul_f64_e32 v[94:95], 0.5, v[94:95]
	v_fma_f64 v[28:29], v[28:29], s[0:1], v[10:11]
	v_fma_f64 v[102:103], v[100:101], 0.5, v[108:109]
	v_fma_f64 v[100:101], v[100:101], s[4:5], v[119:120]
	v_fma_f64 v[108:109], v[80:81], -0.5, v[123:124]
	v_fma_f64 v[66:67], v[80:81], s[4:5], v[66:67]
	v_add_f64_e32 v[119:120], v[231:232], v[72:73]
	v_fma_f64 v[72:73], v[136:137], s[4:5], v[24:25]
	v_mul_f64_e32 v[80:81], s[0:1], v[16:17]
	v_mul_f64_e32 v[135:136], -0.5, v[16:17]
	v_add_f64_e32 v[123:124], v[180:181], v[22:23]
	v_add_f64_e32 v[4:5], v[86:87], v[26:27]
	v_add_f64_e64 v[6:7], v[78:79], -v[88:89]
	v_add_f64_e64 v[8:9], v[86:87], -v[26:27]
	v_fma_f64 v[78:79], v[104:105], s[0:1], v[90:91]
	v_fma_f64 v[86:87], v[104:105], s[4:5], v[90:91]
	;; [unrolled: 1-line block ×6, first 2 shown]
	v_mul_f64_e32 v[137:138], s[0:1], v[133:134]
	v_mul_f64_e32 v[133:134], 0.5, v[133:134]
	v_mul_f64_e32 v[178:179], s[0:1], v[38:39]
	v_mul_f64_e32 v[38:39], -0.5, v[38:39]
	v_fma_f64 v[180:181], v[58:59], s[0:1], v[32:33]
	v_fma_f64 v[58:59], v[58:59], s[4:5], v[32:33]
	;; [unrolled: 1-line block ×3, first 2 shown]
	v_mul_f64_e32 v[201:202], s[0:1], v[20:21]
	v_mul_f64_e32 v[203:204], 0.5, v[20:21]
	v_mul_f64_e32 v[205:206], s[0:1], v[64:65]
	v_mul_f64_e32 v[64:65], -0.5, v[64:65]
	v_fma_f64 v[44:45], v[30:31], s[4:5], v[44:45]
	v_add_f64_e32 v[10:11], v[40:41], v[96:97]
	v_add_f64_e32 v[12:13], v[92:93], v[82:83]
	v_add_f64_e64 v[30:31], v[40:41], -v[96:97]
	v_add_f64_e64 v[32:33], v[92:93], -v[82:83]
	v_mul_f64_e32 v[207:208], s[0:1], v[98:99]
	v_fma_f64 v[176:177], v[174:175], 0.5, v[176:177]
	v_fma_f64 v[94:95], v[174:175], s[4:5], v[94:95]
	v_mul_f64_e32 v[174:175], s[0:1], v[28:29]
	v_mul_f64_e32 v[209:210], -0.5, v[28:29]
	v_mul_f64_e32 v[98:99], 0.5, v[98:99]
	v_add_f64_e32 v[14:15], v[50:51], v[102:103]
	v_add_f64_e32 v[18:19], v[52:53], v[108:109]
	v_add_f64_e64 v[22:23], v[50:51], -v[102:103]
	v_add_f64_e64 v[26:27], v[52:53], -v[108:109]
	v_fma_f64 v[50:51], v[72:73], -0.5, v[80:81]
	v_fma_f64 v[52:53], v[72:73], s[4:5], v[135:136]
	v_add_f64_e32 v[16:17], v[150:151], v[100:101]
	v_add_f64_e32 v[20:21], v[54:55], v[66:67]
	v_add_f64_e64 v[24:25], v[150:151], -v[100:101]
	v_add_f64_e64 v[28:29], v[54:55], -v[66:67]
	v_fma_f64 v[54:55], v[48:49], s[0:1], v[121:122]
	v_fma_f64 v[66:67], v[48:49], s[4:5], v[121:122]
	;; [unrolled: 1-line block ×8, first 2 shown]
	v_fma_f64 v[62:63], v[104:105], 0.5, v[137:138]
	v_fma_f64 v[68:69], v[104:105], s[4:5], v[133:134]
	v_fma_f64 v[102:103], v[127:128], -0.5, v[178:179]
	v_fma_f64 v[104:105], v[127:128], s[4:5], v[38:39]
	v_fma_f64 v[121:122], v[76:77], s[4:5], v[140:141]
	;; [unrolled: 1-line block ×3, first 2 shown]
	v_fma_f64 v[129:130], v[180:181], 0.5, v[201:202]
	v_fma_f64 v[131:132], v[180:181], s[4:5], v[203:204]
	v_fma_f64 v[133:134], v[58:59], -0.5, v[205:206]
	v_fma_f64 v[135:136], v[58:59], s[4:5], v[64:65]
	v_fma_f64 v[139:140], v[76:77], s[0:1], v[140:141]
	v_add_f64_e32 v[60:61], v[215:216], v[60:61]
	v_fma_f64 v[108:109], v[235:236], s[0:1], v[36:37]
	global_wb scope:SCOPE_SE
	v_fma_f64 v[137:138], v[199:200], 0.5, v[207:208]
	v_add_f64_e32 v[34:35], v[78:79], v[176:177]
	v_add_f64_e64 v[38:39], v[78:79], -v[176:177]
	v_fma_f64 v[174:175], v[44:45], -0.5, v[174:175]
	v_fma_f64 v[176:177], v[44:45], s[4:5], v[209:210]
	v_fma_f64 v[150:151], v[199:200], s[4:5], v[98:99]
	s_barrier_signal -1
	s_barrier_wait -1
	global_inv scope:SCOPE_SE
	ds_store_b128 v110, v[2:5]
	ds_store_b128 v110, v[14:17] offset:160
	ds_store_b128 v110, v[6:9] offset:480
	;; [unrolled: 1-line block ×3, first 2 shown]
	v_add_f64_e32 v[2:3], v[86:87], v[50:51]
	v_add_f64_e32 v[4:5], v[90:91], v[52:53]
	;; [unrolled: 1-line block ×3, first 2 shown]
	v_add_f64_e64 v[40:41], v[88:89], -v[94:95]
	v_add_f64_e64 v[6:7], v[86:87], -v[50:51]
	;; [unrolled: 1-line block ×3, first 2 shown]
	v_add_f64_e32 v[14:15], v[74:75], v[117:118]
	v_add_f64_e32 v[16:17], v[56:57], v[42:43]
	v_add_f64_e64 v[18:19], v[74:75], -v[117:118]
	v_add_f64_e64 v[20:21], v[56:57], -v[42:43]
	v_add_f64_e32 v[77:78], v[119:120], v[125:126]
	ds_store_b128 v110, v[22:25] offset:640
	ds_store_b128 v110, v[26:29] offset:800
	v_add_f64_e32 v[42:43], v[54:55], v[62:63]
	v_add_f64_e32 v[44:45], v[72:73], v[68:69]
	;; [unrolled: 1-line block ×4, first 2 shown]
	v_add_f64_e64 v[50:51], v[54:55], -v[62:63]
	v_add_f64_e64 v[52:53], v[72:73], -v[68:69]
	;; [unrolled: 1-line block ×6, first 2 shown]
	v_add_f64_e32 v[66:67], v[96:97], v[133:134]
	v_add_f64_e32 v[68:69], v[100:101], v[135:136]
	v_add_f64_e64 v[73:74], v[96:97], -v[133:134]
	v_add_f64_e32 v[79:80], v[115:116], v[123:124]
	v_add_f64_e32 v[24:25], v[70:71], v[84:85]
	v_add_f64_e64 v[26:27], v[60:61], -v[106:107]
	v_add_f64_e64 v[28:29], v[70:71], -v[84:85]
	v_add_f64_e32 v[95:96], v[127:128], v[174:175]
	v_add_f64_e32 v[97:98], v[139:140], v[176:177]
	;; [unrolled: 1-line block ×3, first 2 shown]
	v_add_f64_e64 v[75:76], v[100:101], -v[135:136]
	v_add_f64_e64 v[81:82], v[119:120], -v[125:126]
	;; [unrolled: 1-line block ×3, first 2 shown]
	v_add_f64_e32 v[87:88], v[108:109], v[137:138]
	v_add_f64_e32 v[89:90], v[121:122], v[150:151]
	;; [unrolled: 1-line block ×4, first 2 shown]
	v_add_f64_e64 v[91:92], v[108:109], -v[137:138]
	v_add_f64_e64 v[93:94], v[121:122], -v[150:151]
	;; [unrolled: 1-line block ×4, first 2 shown]
	ds_store_b128 v239, v[10:13]
	ds_store_b128 v239, v[34:37] offset:160
	ds_store_b128 v239, v[2:5] offset:320
	;; [unrolled: 1-line block ×5, first 2 shown]
	v_mul_u32_u24_e32 v2, 0x3c0, v197
	v_lshlrev_b32_e32 v3, 4, v198
	v_mul_u32_u24_e32 v70, 0x3c0, v195
	v_lshlrev_b32_e32 v71, 4, v196
	v_lshlrev_b32_e32 v5, 4, v194
	v_mul_lo_u16 v4, 0x89, v188
	v_add3_u32 v2, 0, v2, v3
	v_mul_u32_u24_e32 v3, 0x3c0, v193
	v_add3_u32 v10, 0, v70, v71
	ds_store_b128 v10, v[14:17]
	ds_store_b128 v10, v[42:45] offset:160
	v_add3_u32 v3, 0, v3, v5
	ds_store_b128 v10, v[46:49] offset:320
	ds_store_b128 v10, v[18:21] offset:480
	;; [unrolled: 1-line block ×4, first 2 shown]
	ds_store_b128 v2, v[22:25]
	ds_store_b128 v2, v[58:61] offset:160
	ds_store_b128 v2, v[66:69] offset:320
	;; [unrolled: 1-line block ×5, first 2 shown]
	ds_store_b128 v3, v[77:80]
	ds_store_b128 v3, v[87:90] offset:160
	ds_store_b128 v3, v[95:98] offset:320
	;; [unrolled: 1-line block ×3, first 2 shown]
	v_mul_u32_u24_e32 v83, 0x8889, v192
	v_lshrrev_b16 v70, 13, v4
	v_mul_lo_u16 v86, 0x89, v189
	ds_store_b128 v3, v[91:94] offset:640
	ds_store_b128 v3, v[99:102] offset:800
	v_and_b32_e32 v13, 0xffff, v168
	v_lshrrev_b32_e32 v100, 21, v83
	v_mul_lo_u16 v4, v70, 60
	v_lshrrev_b16 v72, 13, v86
	v_and_b32_e32 v19, 0xffff, v164
	v_mul_u32_u24_e32 v85, 0x8889, v13
	v_mul_lo_u16 v12, v100, 60
	v_and_b32_e32 v13, 0xffff, v166
	v_sub_nc_u16 v2, v0, v4
	v_mul_lo_u16 v4, v72, 60
	v_mul_u32_u24_e32 v87, 0x8889, v190
	v_sub_nc_u16 v12, v170, v12
	v_lshrrev_b32_e32 v103, 21, v85
	v_mul_u32_u24_e32 v84, 0x8889, v13
	v_mul_u32_u24_e32 v82, 0x8889, v191
	;; [unrolled: 1-line block ×3, first 2 shown]
	v_and_b32_e32 v2, 0xff, v2
	v_sub_nc_u16 v3, v146, v4
	v_lshrrev_b32_e32 v96, 21, v87
	v_and_b32_e32 v18, 0xffff, v12
	v_mul_lo_u16 v20, v103, 60
	v_lshrrev_b32_e32 v104, 21, v84
	v_and_b32_e32 v19, 0xffff, v162
	v_lshrrev_b32_e32 v99, 21, v82
	v_lshrrev_b32_e32 v108, 21, v74
	v_lshlrev_b32_e32 v71, 4, v2
	v_and_b32_e32 v2, 0xff, v3
	v_mul_lo_u16 v3, v96, 60
	v_lshlrev_b32_e32 v101, 4, v18
	v_sub_nc_u16 v18, v168, v20
	v_mul_lo_u16 v20, v104, 60
	v_mul_u32_u24_e32 v75, 0x8889, v19
	v_and_b32_e32 v19, 0xffff, v160
	v_mul_lo_u16 v4, v99, 60
	v_mul_lo_u16 v21, v108, 60
	v_sub_nc_u16 v10, v148, v3
	v_sub_nc_u16 v20, v166, v20
	v_lshrrev_b32_e32 v109, 21, v75
	v_mul_u32_u24_e32 v76, 0x8889, v19
	v_sub_nc_u16 v11, v172, v4
	v_sub_nc_u16 v27, v164, v21
	v_and_b32_e32 v10, 0xffff, v10
	v_and_b32_e32 v26, 0xffff, v20
	v_mul_lo_u16 v28, v109, 60
	v_lshrrev_b32_e32 v123, 21, v76
	v_and_b32_e32 v11, 0xffff, v11
	v_and_b32_e32 v18, 0xffff, v18
	;; [unrolled: 1-line block ×3, first 2 shown]
	v_lshlrev_b32_e32 v73, 4, v10
	v_sub_nc_u16 v28, v162, v28
	v_and_b32_e32 v29, 0xffff, v158
	v_mul_lo_u16 v30, v123, 60
	v_lshlrev_b32_e32 v105, 4, v26
	v_lshlrev_b32_e32 v95, 4, v2
	;; [unrolled: 1-line block ×5, first 2 shown]
	global_wb scope:SCOPE_SE
	s_wait_dscnt 0x0
	s_barrier_signal -1
	s_barrier_wait -1
	global_inv scope:SCOPE_SE
	s_clause 0x5
	global_load_b128 v[6:9], v71, s[8:9] offset:800
	global_load_b128 v[2:5], v95, s[8:9] offset:800
	;; [unrolled: 1-line block ×6, first 2 shown]
	v_and_b32_e32 v34, 0xffff, v28
	v_mul_u32_u24_e32 v77, 0x8889, v29
	v_sub_nc_u16 v35, v160, v30
	s_clause 0x1
	global_load_b128 v[30:33], v105, s[8:9] offset:800
	global_load_b128 v[26:29], v106, s[8:9] offset:800
	scratch_load_b64 v[246:247], off, off th:TH_LOAD_LU ; 8-byte Folded Reload
	v_and_b32_e32 v36, 0xffff, v156
	v_lshlrev_b32_e32 v107, 4, v34
	v_and_b32_e32 v34, 0xffff, v35
	v_and_b32_e32 v35, 0xffff, v154
	;; [unrolled: 1-line block ×3, first 2 shown]
	v_mul_u32_u24_e32 v78, 0x8889, v36
	v_lshrrev_b32_e32 v129, 21, v77
	v_lshlrev_b32_e32 v110, 4, v34
	v_mul_u32_u24_e32 v80, 0x8889, v35
	v_mul_u32_u24_e32 v81, 0x8889, v37
	v_lshrrev_b32_e32 v130, 21, v78
	v_mul_lo_u16 v36, v129, 60
	v_mul_u32_u24_e32 v231, 0x780, v99
	v_lshrrev_b32_e32 v133, 21, v80
	v_lshrrev_b32_e32 v131, 21, v81
	v_mul_lo_u16 v43, v130, 60
	v_sub_nc_u16 v42, v158, v36
	v_mul_u32_u24_e32 v232, 0x780, v100
	v_mul_lo_u16 v44, v133, 60
	v_mul_lo_u16 v45, v131, 60
	v_sub_nc_u16 v43, v156, v43
	v_and_b32_e32 v42, 0xffff, v42
	v_mul_u32_u24_e32 v233, 0x780, v103
	v_sub_nc_u16 v44, v154, v44
	v_sub_nc_u16 v45, v152, v45
	v_and_b32_e32 v43, 0xffff, v43
	v_lshlrev_b32_e32 v124, 4, v42
	v_mul_u32_u24_e32 v234, 0x780, v104
	v_and_b32_e32 v47, 0xffff, v44
	v_and_b32_e32 v48, 0xffff, v45
	v_lshlrev_b32_e32 v125, 4, v43
	v_mul_u32_u24_e32 v235, 0x780, v108
	v_mul_u32_u24_e32 v236, 0x780, v109
	v_lshlrev_b32_e32 v126, 4, v47
	v_lshlrev_b32_e32 v127, 4, v48
	v_mul_u32_u24_e32 v237, 0x780, v129
	v_mul_u32_u24_e32 v238, 0x780, v130
	;; [unrolled: 1-line block ×3, first 2 shown]
	v_add_nc_u32_e32 v88, 0xffffff88, v0
	v_cmp_gt_u32_e64 s0, 0x78, v0
	v_and_b32_e32 v72, 0xffff, v72
	v_lshrrev_b16 v86, 14, v86
	v_lshrrev_b32_e32 v87, 22, v87
	v_mov_b32_e32 v98, 0
	s_wait_alu 0xf1ff
	v_cndmask_b32_e64 v97, v88, v0, s0
	v_and_b32_e32 v70, 0xffff, v70
	v_mul_u32_u24_e32 v230, 0x780, v96
	v_lshl_add_u32 v119, v166, 4, 0
	v_lshl_add_u32 v118, v164, 4, 0
	v_lshlrev_b64_e32 v[208:209], 4, v[97:98]
	v_lshl_add_u32 v117, v162, 4, 0
	v_lshl_add_u32 v116, v160, 4, 0
	;; [unrolled: 1-line block ×5, first 2 shown]
	v_add_co_u32 v226, s0, s8, v208
	s_wait_alu 0xf1ff
	v_add_co_ci_u32_e64 v227, s0, s9, v209, s0
	v_lshrrev_b32_e32 v88, 22, v82
	v_mul_u32_u24_e32 v123, 0x780, v123
	v_lshrrev_b32_e32 v89, 22, v83
	v_add3_u32 v73, 0, v230, v73
	v_add3_u32 v94, 0, v231, v94
	v_mul_lo_u16 v241, 0x78, v88
	v_lshrrev_b32_e32 v90, 22, v85
	v_lshrrev_b32_e32 v91, 22, v84
	;; [unrolled: 1-line block ×4, first 2 shown]
	v_cmp_lt_u32_e64 s0, 0x77, v0
	v_mul_u32_u24_e32 v230, 0xf00, v87
	v_mul_u32_u24_e32 v231, 0xf00, v88
	v_lshrrev_b32_e32 v82, 23, v82
	s_wait_loadcnt 0x0
	v_and_b32_e32 v34, 0xffff, v246
	v_lshl_add_u32 v120, v246, 4, 0
	s_delay_alu instid0(VALU_DEP_2)
	v_mul_u32_u24_e32 v79, 0x8889, v34
	s_clause 0x4
	global_load_b128 v[38:41], v107, s[8:9] offset:800
	global_load_b128 v[34:37], v110, s[8:9] offset:800
	;; [unrolled: 1-line block ×5, first 2 shown]
	v_lshrrev_b32_e32 v132, 21, v79
	s_delay_alu instid0(VALU_DEP_1) | instskip(SKIP_1) | instid1(VALU_DEP_2)
	v_mul_lo_u16 v46, v132, 60
	v_mul_u32_u24_e32 v240, 0x780, v132
	v_sub_nc_u16 v46, v246, v46
	s_delay_alu instid0(VALU_DEP_1) | instskip(NEXT) | instid1(VALU_DEP_1)
	v_and_b32_e32 v46, 0xffff, v46
	v_lshlrev_b32_e32 v128, 4, v46
	s_clause 0x1
	global_load_b128 v[58:61], v127, s[8:9] offset:800
	global_load_b128 v[46:49], v128, s[8:9] offset:800
	ds_load_b128 v[62:65], v182 offset:30720
	ds_load_b128 v[66:69], v182 offset:32768
	;; [unrolled: 1-line block ×4, first 2 shown]
	ds_load_b128 v[174:177], v182
	ds_load_b128 v[178:181], v182 offset:38912
	ds_load_b128 v[188:191], v182 offset:40960
	ds_load_b128 v[192:195], v182 offset:43008
	ds_load_b128 v[196:199], v182 offset:45056
	ds_load_b128 v[200:203], v182 offset:47104
	ds_load_b128 v[204:207], v182 offset:49152
	s_wait_dscnt 0xa
	v_mul_f64_e32 v[150:151], v[64:65], v[8:9]
	v_mul_f64_e32 v[8:9], v[62:63], v[8:9]
	s_wait_dscnt 0x9
	v_mul_f64_e32 v[210:211], v[68:69], v[4:5]
	v_mul_f64_e32 v[212:213], v[66:67], v[4:5]
	s_wait_dscnt 0x8
	v_mul_f64_e32 v[214:215], v[136:137], v[16:17]
	v_mul_f64_e32 v[16:17], v[134:135], v[16:17]
	s_wait_dscnt 0x7
	v_mul_f64_e32 v[216:217], v[140:141], v[12:13]
	v_mul_f64_e32 v[218:219], v[138:139], v[12:13]
	s_wait_dscnt 0x5
	v_mul_f64_e32 v[220:221], v[180:181], v[24:25]
	s_wait_dscnt 0x4
	v_mul_f64_e32 v[99:100], v[190:191], v[20:21]
	v_mul_f64_e32 v[20:21], v[188:189], v[20:21]
	s_wait_dscnt 0x3
	v_mul_f64_e32 v[103:104], v[194:195], v[32:33]
	v_mul_f64_e32 v[32:33], v[192:193], v[32:33]
	;; [unrolled: 1-line block ×3, first 2 shown]
	v_fma_f64 v[108:109], v[62:63], v[6:7], v[150:151]
	v_fma_f64 v[150:151], v[64:65], v[6:7], -v[8:9]
	ds_load_b128 v[4:7], v182 offset:51200
	ds_load_b128 v[62:65], v182 offset:53248
	v_fma_f64 v[129:130], v[66:67], v[2:3], v[210:211]
	v_fma_f64 v[210:211], v[68:69], v[2:3], -v[212:213]
	ds_load_b128 v[66:69], v182 offset:55296
	v_fma_f64 v[212:213], v[134:135], v[14:15], v[214:215]
	v_fma_f64 v[214:215], v[136:137], v[14:15], -v[16:17]
	ds_load_b128 v[12:15], v182 offset:57344
	ds_load_b128 v[133:136], v182 offset:59392
	s_wait_dscnt 0x7
	v_mul_f64_e32 v[2:3], v[198:199], v[28:29]
	v_mul_f64_e32 v[8:9], v[196:197], v[28:29]
	v_fma_f64 v[137:138], v[138:139], v[10:11], v[216:217]
	v_fma_f64 v[139:140], v[140:141], v[10:11], -v[218:219]
	v_fma_f64 v[178:179], v[178:179], v[22:23], v[220:221]
	v_fma_f64 v[99:100], v[188:189], v[18:19], v[99:100]
	v_fma_f64 v[188:189], v[190:191], v[18:19], -v[20:21]
	v_fma_f64 v[103:104], v[192:193], v[30:31], v[103:104]
	v_fma_f64 v[192:193], v[194:195], v[30:31], -v[32:33]
	v_fma_f64 v[180:181], v[180:181], v[22:23], -v[24:25]
	v_mul_u32_u24_e32 v17, 0x780, v72
	v_mul_lo_u16 v10, 0x78, v86
	v_mul_lo_u16 v11, 0x78, v87
	v_mul_u32_u24_e32 v16, 0x780, v70
	v_mul_u32_u24_e32 v141, 0x780, v131
	v_add3_u32 v244, 0, v17, v95
	v_sub_nc_u16 v10, v146, v10
	v_sub_nc_u16 v11, v148, v11
	v_add3_u32 v243, 0, v16, v71
	s_delay_alu instid0(VALU_DEP_3) | instskip(NEXT) | instid1(VALU_DEP_3)
	v_and_b32_e32 v72, 0xff, v10
	v_and_b32_e32 v242, 0xffff, v11
	v_fma_f64 v[95:96], v[196:197], v[26:27], v[2:3]
	v_fma_f64 v[194:195], v[198:199], v[26:27], -v[8:9]
	ds_load_b128 v[8:11], v114
	ds_load_b128 v[16:19], v113
	s_wait_dscnt 0x0
	v_add_f64_e64 v[70:71], v[18:19], -v[214:215]
	s_delay_alu instid0(VALU_DEP_1)
	v_fma_f64 v[18:19], v[18:19], 2.0, -v[70:71]
	s_wait_loadcnt 0x6
	v_mul_f64_e32 v[28:29], v[202:203], v[40:41]
	v_mul_f64_e32 v[40:41], v[200:201], v[40:41]
	s_wait_loadcnt 0x5
	v_mul_f64_e32 v[216:217], v[206:207], v[36:37]
	v_mul_f64_e32 v[36:37], v[204:205], v[36:37]
	;; [unrolled: 3-line block ×7, first 2 shown]
	v_fma_f64 v[196:197], v[200:201], v[38:39], v[28:29]
	v_fma_f64 v[198:199], v[202:203], v[38:39], -v[40:41]
	v_fma_f64 v[200:201], v[204:205], v[34:35], v[216:217]
	v_fma_f64 v[202:203], v[206:207], v[34:35], -v[36:37]
	;; [unrolled: 2-line block ×5, first 2 shown]
	ds_load_b128 v[20:23], v111
	ds_load_b128 v[24:27], v112
	;; [unrolled: 1-line block ×3, first 2 shown]
	v_add_f64_e64 v[62:63], v[176:177], -v[150:151]
	v_add_f64_e64 v[64:65], v[8:9], -v[129:130]
	;; [unrolled: 1-line block ×4, first 2 shown]
	v_fma_f64 v[220:221], v[12:13], v[58:59], v[190:191]
	v_fma_f64 v[222:223], v[14:15], v[58:59], -v[60:61]
	v_fma_f64 v[224:225], v[133:134], v[46:47], v[224:225]
	v_fma_f64 v[228:229], v[135:136], v[46:47], -v[32:33]
	ds_load_b128 v[2:5], v119
	ds_load_b128 v[12:15], v118
	;; [unrolled: 1-line block ×9, first 2 shown]
	v_add_f64_e64 v[60:61], v[174:175], -v[108:109]
	s_wait_dscnt 0xb
	v_add_f64_e64 v[129:130], v[20:21], -v[137:138]
	v_add_f64_e64 v[131:132], v[22:23], -v[139:140]
	s_wait_dscnt 0xa
	v_add_f64_e64 v[133:134], v[24:25], -v[178:179]
	;; [unrolled: 3-line block ×3, first 2 shown]
	v_add_f64_e64 v[139:140], v[30:31], -v[188:189]
	v_add3_u32 v108, 0, v141, v127
	v_add3_u32 v109, 0, v240, v128
	global_wb scope:SCOPE_SE
	s_wait_dscnt 0x0
	s_barrier_signal -1
	v_add_f64_e64 v[178:179], v[2:3], -v[103:104]
	v_add_f64_e64 v[180:181], v[4:5], -v[192:193]
	;; [unrolled: 1-line block ×14, first 2 shown]
	v_add3_u32 v95, 0, v232, v101
	v_add3_u32 v96, 0, v233, v102
	v_fma_f64 v[101:102], v[176:177], 2.0, -v[62:63]
	v_fma_f64 v[6:7], v[8:9], 2.0, -v[64:65]
	;; [unrolled: 1-line block ×4, first 2 shown]
	v_add3_u32 v103, 0, v234, v105
	v_add3_u32 v104, 0, v235, v106
	v_add_f64_e64 v[212:213], v[52:53], -v[220:221]
	v_add_f64_e64 v[214:215], v[54:55], -v[222:223]
	;; [unrolled: 1-line block ×4, first 2 shown]
	v_add3_u32 v105, 0, v236, v107
	v_fma_f64 v[99:100], v[174:175], 2.0, -v[60:61]
	v_fma_f64 v[20:21], v[20:21], 2.0, -v[129:130]
	v_fma_f64 v[22:23], v[22:23], 2.0, -v[131:132]
	v_fma_f64 v[24:25], v[24:25], 2.0, -v[133:134]
	v_fma_f64 v[26:27], v[26:27], 2.0, -v[135:136]
	v_fma_f64 v[28:29], v[28:29], 2.0, -v[137:138]
	v_fma_f64 v[30:31], v[30:31], 2.0, -v[139:140]
	v_add3_u32 v106, 0, v123, v110
	v_add3_u32 v107, 0, v239, v126
	s_barrier_wait -1
	global_inv scope:SCOPE_SE
	v_fma_f64 v[2:3], v[2:3], 2.0, -v[178:179]
	v_fma_f64 v[4:5], v[4:5], 2.0, -v[180:181]
	;; [unrolled: 1-line block ×14, first 2 shown]
	v_add3_u32 v14, 0, v237, v124
	v_add3_u32 v15, 0, v238, v125
	v_lshrrev_b32_e32 v128, 22, v80
	v_and_b32_e32 v221, 0xffff, v86
	v_mul_u32_u24_e32 v232, 0xf00, v89
	v_mul_u32_u24_e32 v233, 0xf00, v90
	;; [unrolled: 1-line block ×3, first 2 shown]
	v_lshrrev_b32_e32 v220, 23, v75
	v_fma_f64 v[52:53], v[52:53], 2.0, -v[212:213]
	v_fma_f64 v[54:55], v[54:55], 2.0, -v[214:215]
	;; [unrolled: 1-line block ×4, first 2 shown]
	ds_store_b128 v243, v[60:63] offset:960
	ds_store_b128 v243, v[99:102]
	ds_store_b128 v244, v[6:9]
	ds_store_b128 v244, v[64:67] offset:960
	ds_store_b128 v73, v[16:19]
	ds_store_b128 v73, v[68:71] offset:960
	;; [unrolled: 2-line block ×14, first 2 shown]
	v_lshlrev_b32_e32 v96, 4, v72
	v_mul_lo_u16 v11, 0x78, v89
	global_wb scope:SCOPE_SE
	s_wait_dscnt 0x0
	s_barrier_signal -1
	s_barrier_wait -1
	global_inv scope:SCOPE_SE
	global_load_b128 v[2:5], v[226:227], off offset:1760
	v_sub_nc_u16 v10, v172, v241
	v_lshlrev_b32_e32 v95, 4, v242
	global_load_b128 v[6:9], v96, s[8:9] offset:1760
	v_sub_nc_u16 v15, v170, v11
	v_mul_lo_u16 v16, 0x78, v90
	v_and_b32_e32 v14, 0xffff, v10
	global_load_b128 v[10:13], v95, s[8:9] offset:1760
	v_mul_lo_u16 v20, 0x78, v91
	v_and_b32_e32 v18, 0xffff, v15
	v_sub_nc_u16 v19, v168, v16
	v_lshlrev_b32_e32 v101, 4, v14
	v_lshrrev_b32_e32 v102, 22, v76
	v_lshrrev_b32_e32 v104, 22, v77
	v_lshlrev_b32_e32 v103, 4, v18
	v_and_b32_e32 v18, 0xffff, v19
	v_sub_nc_u16 v19, v166, v20
	global_load_b128 v[14:17], v101, s[8:9] offset:1760
	v_mul_lo_u16 v20, 0x78, v92
	global_load_b128 v[50:53], v103, s[8:9] offset:1760
	v_lshlrev_b32_e32 v108, 4, v18
	v_and_b32_e32 v18, 0xffff, v19
	v_mul_lo_u16 v19, 0x78, v93
	v_lshrrev_b32_e32 v106, 22, v78
	v_mul_lo_u16 v21, 0x78, v102
	global_load_b128 v[54:57], v108, s[8:9] offset:1760
	v_lshlrev_b32_e32 v124, 4, v18
	v_sub_nc_u16 v19, v164, v19
	v_mul_lo_u16 v18, 0x78, v104
	v_sub_nc_u16 v20, v162, v20
	v_lshrrev_b32_e32 v130, 22, v81
	global_load_b128 v[58:61], v124, s[8:9] offset:1760
	v_mul_lo_u16 v22, 0x78, v106
	v_lshrrev_b32_e32 v131, 22, v79
	v_mul_lo_u16 v23, 0x78, v128
	v_sub_nc_u16 v21, v160, v21
	v_and_b32_e32 v19, 0xffff, v19
	v_sub_nc_u16 v18, v158, v18
	v_and_b32_e32 v20, 0xffff, v20
	v_mul_lo_u16 v24, 0x78, v130
	v_sub_nc_u16 v22, v156, v22
	v_mul_lo_u16 v25, 0x78, v131
	v_sub_nc_u16 v23, v154, v23
	v_lshlrev_b32_e32 v126, 4, v19
	v_and_b32_e32 v19, 0xffff, v21
	v_and_b32_e32 v18, 0xffff, v18
	v_lshlrev_b32_e32 v127, 4, v20
	v_sub_nc_u16 v24, v152, v24
	global_load_b128 v[46:49], v126, s[8:9] offset:1760
	v_and_b32_e32 v20, 0xffff, v22
	v_sub_nc_u16 v25, v246, v25
	v_lshlrev_b32_e32 v129, 4, v19
	v_and_b32_e32 v22, 0xffff, v23
	v_lshlrev_b32_e32 v107, 4, v18
	global_load_b128 v[26:29], v127, s[8:9] offset:1760
	v_and_b32_e32 v23, 0xffff, v24
	global_load_b128 v[30:33], v129, s[8:9] offset:1760
	v_lshlrev_b32_e32 v109, 4, v20
	v_lshlrev_b32_e32 v110, 4, v22
	v_and_b32_e32 v22, 0xffff, v25
	global_load_b128 v[18:21], v107, s[8:9] offset:1760
	v_lshlrev_b32_e32 v123, 4, v23
	s_clause 0x1
	global_load_b128 v[34:37], v109, s[8:9] offset:1760
	global_load_b128 v[38:41], v110, s[8:9] offset:1760
	v_lshlrev_b32_e32 v125, 4, v22
	s_clause 0x1
	global_load_b128 v[42:45], v123, s[8:9] offset:1760
	global_load_b128 v[22:25], v125, s[8:9] offset:1760
	ds_load_b128 v[66:69], v182 offset:30720
	ds_load_b128 v[62:65], v182 offset:32768
	;; [unrolled: 1-line block ×3, first 2 shown]
	v_lshlrev_b64_e32 v[70:71], 4, v[0:1]
	s_wait_alu 0xf1ff
	v_cndmask_b32_e64 v1, 0, 0xf00, s0
	v_lshlrev_b32_e32 v192, 4, v97
	v_lshrrev_b32_e32 v218, 23, v83
	v_lshrrev_b32_e32 v219, 23, v84
	v_mul_lo_u16 v244, 0xf0, v220
	v_add_co_u32 v99, s0, s8, v70
	s_wait_alu 0xf1ff
	v_add_co_ci_u32_e64 v100, s0, s9, v71, s0
	ds_load_b128 v[136:139], v182 offset:36864
	ds_load_b128 v[70:73], v182
	ds_load_b128 v[174:177], v182 offset:38912
	ds_load_b128 v[178:181], v182 offset:40960
	;; [unrolled: 1-line block ×3, first 2 shown]
	v_add3_u32 v229, 0, v1, v192
	ds_load_b128 v[192:195], v182 offset:45056
	ds_load_b128 v[86:89], v182 offset:47104
	;; [unrolled: 1-line block ×3, first 2 shown]
	v_mul_lo_u16 v240, 0xf0, v218
	v_mul_lo_u16 v242, 0xf0, v219
	v_mul_u32_u24_e32 v235, 0xf00, v93
	v_mul_u32_u24_e32 v236, 0xf00, v92
	;; [unrolled: 1-line block ×4, first 2 shown]
	v_add_nc_u32_e32 v94, 0xffffff90, v0
	v_cmp_gt_u32_e64 s0, 0xf0, v146
	v_mul_u32_u24_e32 v102, 0xf00, v102
	v_mul_u32_u24_e32 v104, 0xf00, v104
	;; [unrolled: 1-line block ×4, first 2 shown]
	s_wait_alu 0xf1ff
	v_cndmask_b32_e64 v97, v94, v146, s0
	v_mul_lo_u16 v239, 0xf0, v82
	v_add3_u32 v95, 0, v230, v95
	v_add3_u32 v101, 0, v231, v101
	;; [unrolled: 1-line block ×3, first 2 shown]
	v_lshlrev_b64_e32 v[216:217], 4, v[97:98]
	v_add3_u32 v108, 0, v233, v108
	v_add3_u32 v124, 0, v234, v124
	;; [unrolled: 1-line block ×5, first 2 shown]
	v_lshrrev_b32_e32 v83, 23, v85
	v_lshrrev_b32_e32 v84, 23, v74
	;; [unrolled: 1-line block ×5, first 2 shown]
	v_mul_lo_u16 v241, 0xf0, v83
	v_mul_lo_u16 v243, 0xf0, v84
	v_lshrrev_b32_e32 v226, 23, v77
	v_lshrrev_b32_e32 v94, 23, v78
	v_mul_lo_u16 v245, 0xf0, v85
	v_lshrrev_b32_e32 v228, 23, v79
	v_mul_u32_u24_e32 v230, 0x1e00, v82
	v_mul_u32_u24_e32 v231, 0x1e00, v83
	;; [unrolled: 1-line block ×6, first 2 shown]
	s_wait_loadcnt_dscnt 0xe0a
	v_mul_f64_e32 v[140:141], v[68:69], v[4:5]
	v_mul_f64_e32 v[4:5], v[66:67], v[4:5]
	s_wait_loadcnt_dscnt 0xd09
	v_mul_f64_e32 v[150:151], v[64:65], v[8:9]
	v_mul_f64_e32 v[8:9], v[62:63], v[8:9]
	;; [unrolled: 3-line block ×7, first 2 shown]
	v_fma_f64 v[140:141], v[66:67], v[2:3], v[140:141]
	v_fma_f64 v[68:69], v[68:69], v[2:3], -v[4:5]
	ds_load_b128 v[1:4], v182 offset:51200
	v_fma_f64 v[90:91], v[62:63], v[6:7], v[150:151]
	ds_load_b128 v[60:63], v182 offset:53248
	v_fma_f64 v[150:151], v[64:65], v[6:7], -v[8:9]
	ds_load_b128 v[5:8], v182 offset:55296
	v_fma_f64 v[132:133], v[132:133], v[10:11], v[200:201]
	v_fma_f64 v[134:135], v[134:135], v[10:11], -v[12:13]
	ds_load_b128 v[9:12], v182 offset:57344
	ds_load_b128 v[64:67], v182 offset:59392
	s_wait_loadcnt_dscnt 0x707
	v_mul_f64_e32 v[200:201], v[194:195], v[48:49]
	v_mul_f64_e32 v[48:49], v[192:193], v[48:49]
	v_mul_u32_u24_e32 v13, 0xf00, v221
	s_wait_loadcnt_dscnt 0x606
	v_mul_f64_e32 v[212:213], v[88:89], v[28:29]
	v_mul_f64_e32 v[28:29], v[86:87], v[28:29]
	v_fma_f64 v[136:137], v[136:137], v[14:15], v[202:203]
	s_wait_loadcnt_dscnt 0x505
	v_mul_f64_e32 v[202:203], v[198:199], v[32:33]
	v_mul_f64_e32 v[32:33], v[196:197], v[32:33]
	v_fma_f64 v[176:177], v[176:177], v[50:51], -v[52:53]
	s_wait_loadcnt_dscnt 0x404
	v_mul_f64_e32 v[214:215], v[3:4], v[20:21]
	v_mul_f64_e32 v[20:21], v[1:2], v[20:21]
	s_wait_loadcnt_dscnt 0x303
	v_mul_f64_e32 v[52:53], v[62:63], v[36:37]
	v_mul_f64_e32 v[36:37], v[60:61], v[36:37]
	v_fma_f64 v[174:175], v[174:175], v[50:51], v[204:205]
	s_wait_loadcnt_dscnt 0x202
	v_mul_f64_e32 v[204:205], v[7:8], v[40:41]
	v_mul_f64_e32 v[40:41], v[5:6], v[40:41]
	v_fma_f64 v[178:179], v[178:179], v[54:55], v[206:207]
	v_fma_f64 v[180:181], v[180:181], v[54:55], -v[56:57]
	s_wait_loadcnt_dscnt 0x101
	v_mul_f64_e32 v[54:55], v[11:12], v[44:45]
	v_mul_f64_e32 v[56:57], v[9:10], v[44:45]
	s_wait_loadcnt_dscnt 0x0
	v_mul_f64_e32 v[206:207], v[66:67], v[24:25]
	v_fma_f64 v[188:189], v[188:189], v[58:59], v[208:209]
	v_fma_f64 v[190:191], v[190:191], v[58:59], -v[210:211]
	v_mul_f64_e32 v[58:59], v[64:65], v[24:25]
	v_fma_f64 v[138:139], v[138:139], v[14:15], -v[16:17]
	v_add3_u32 v96, 0, v13, v96
	v_fma_f64 v[192:193], v[192:193], v[46:47], v[200:201]
	v_fma_f64 v[194:195], v[194:195], v[46:47], -v[48:49]
	ds_load_b128 v[13:16], v114
	ds_load_b128 v[44:47], v113
	v_fma_f64 v[200:201], v[86:87], v[26:27], v[212:213]
	v_fma_f64 v[208:209], v[88:89], v[26:27], -v[28:29]
	ds_load_b128 v[24:27], v111
	ds_load_b128 v[48:51], v112
	v_fma_f64 v[196:197], v[196:197], v[30:31], v[202:203]
	v_fma_f64 v[198:199], v[198:199], v[30:31], -v[32:33]
	ds_load_b128 v[28:31], v187
	v_fma_f64 v[202:203], v[1:2], v[18:19], v[214:215]
	v_fma_f64 v[210:211], v[3:4], v[18:19], -v[20:21]
	v_fma_f64 v[212:213], v[60:61], v[34:35], v[52:53]
	v_fma_f64 v[214:215], v[62:63], v[34:35], -v[36:37]
	v_add_f64_e64 v[60:61], v[70:71], -v[140:141]
	v_fma_f64 v[204:205], v[5:6], v[38:39], v[204:205]
	v_fma_f64 v[218:219], v[7:8], v[38:39], -v[40:41]
	v_add_f64_e64 v[62:63], v[72:73], -v[68:69]
	v_fma_f64 v[220:221], v[9:10], v[42:43], v[54:55]
	v_fma_f64 v[222:223], v[11:12], v[42:43], -v[56:57]
	v_fma_f64 v[224:225], v[64:65], v[22:23], v[206:207]
	s_wait_dscnt 0x4
	v_add_f64_e64 v[64:65], v[13:14], -v[90:91]
	s_wait_dscnt 0x3
	v_add_f64_e64 v[86:87], v[44:45], -v[132:133]
	v_fma_f64 v[21:22], v[66:67], v[22:23], -v[58:59]
	ds_load_b128 v[1:4], v119
	ds_load_b128 v[5:8], v118
	;; [unrolled: 1-line block ×9, first 2 shown]
	v_add_f64_e64 v[66:67], v[15:16], -v[150:151]
	v_add_f64_e64 v[88:89], v[46:47], -v[134:135]
	s_wait_dscnt 0xb
	v_add_f64_e64 v[90:91], v[24:25], -v[136:137]
	v_add_f64_e64 v[92:93], v[26:27], -v[138:139]
	s_wait_dscnt 0xa
	;; [unrolled: 3-line block ×3, first 2 shown]
	v_add_f64_e64 v[134:135], v[28:29], -v[178:179]
	v_add_f64_e64 v[136:137], v[30:31], -v[180:181]
	global_wb scope:SCOPE_SE
	s_wait_dscnt 0x0
	s_barrier_signal -1
	s_barrier_wait -1
	v_add_f64_e64 v[138:139], v[1:2], -v[188:189]
	v_add_f64_e64 v[140:141], v[3:4], -v[190:191]
	;; [unrolled: 1-line block ×4, first 2 shown]
	global_inv scope:SCOPE_SE
	v_add_f64_e64 v[178:179], v[9:10], -v[200:201]
	v_add_f64_e64 v[180:181], v[11:12], -v[208:209]
	v_lshrrev_b32_e32 v151, 24, v77
	v_add_f64_e64 v[188:189], v[17:18], -v[196:197]
	v_add_f64_e64 v[190:191], v[19:20], -v[198:199]
	;; [unrolled: 1-line block ×6, first 2 shown]
	v_fma_f64 v[68:69], v[70:71], 2.0, -v[60:61]
	v_add_f64_e64 v[200:201], v[40:41], -v[204:205]
	v_add_f64_e64 v[202:203], v[42:43], -v[218:219]
	v_fma_f64 v[70:71], v[72:73], 2.0, -v[62:63]
	v_add3_u32 v72, 0, v237, v123
	v_add_f64_e64 v[204:205], v[52:53], -v[220:221]
	v_add_f64_e64 v[206:207], v[54:55], -v[222:223]
	;; [unrolled: 1-line block ×3, first 2 shown]
	v_fma_f64 v[13:14], v[13:14], 2.0, -v[64:65]
	v_fma_f64 v[44:45], v[44:45], 2.0, -v[86:87]
	v_add_f64_e64 v[210:211], v[58:59], -v[21:22]
	v_add3_u32 v73, 0, v238, v125
	v_fma_f64 v[15:16], v[15:16], 2.0, -v[66:67]
	v_fma_f64 v[46:47], v[46:47], 2.0, -v[88:89]
	;; [unrolled: 1-line block ×8, first 2 shown]
	v_mul_lo_u16 v151, 0x1e0, v151
	v_fma_f64 v[1:2], v[1:2], 2.0, -v[138:139]
	v_fma_f64 v[3:4], v[3:4], 2.0, -v[140:141]
	;; [unrolled: 1-line block ×14, first 2 shown]
	v_add3_u32 v41, 0, v104, v107
	v_add3_u32 v42, 0, v106, v109
	v_fma_f64 v[52:53], v[52:53], 2.0, -v[204:205]
	v_fma_f64 v[54:55], v[54:55], 2.0, -v[206:207]
	;; [unrolled: 1-line block ×3, first 2 shown]
	v_add3_u32 v43, 0, v128, v110
	v_lshrrev_b32_e32 v109, 24, v74
	v_fma_f64 v[58:59], v[58:59], 2.0, -v[210:211]
	ds_store_b128 v229, v[60:63] offset:1920
	ds_store_b128 v229, v[68:71]
	ds_store_b128 v96, v[13:16]
	ds_store_b128 v96, v[64:67] offset:1920
	ds_store_b128 v95, v[44:47]
	ds_store_b128 v95, v[86:89] offset:1920
	;; [unrolled: 2-line block ×14, first 2 shown]
	v_add_co_u32 v1, s0, s8, v216
	s_wait_alu 0xf1ff
	v_add_co_ci_u32_e64 v2, s0, s9, v217, s0
	v_sub_nc_u16 v4, v172, v239
	global_wb scope:SCOPE_SE
	s_wait_dscnt 0x0
	s_barrier_signal -1
	s_barrier_wait -1
	global_inv scope:SCOPE_SE
	s_clause 0x1
	global_load_b128 v[9:12], v[99:100], off offset:3680
	global_load_b128 v[17:20], v[1:2], off offset:3680
	v_and_b32_e32 v2, 0xffff, v4
	global_load_b128 v[37:40], v[99:100], off offset:3936
	v_sub_nc_u16 v7, v170, v240
	v_mul_lo_u16 v6, 0xf0, v227
	v_sub_nc_u16 v8, v168, v241
	v_lshlrev_b32_e32 v67, 4, v2
	v_mul_lo_u16 v1, 0xf0, v105
	v_sub_nc_u16 v2, v166, v242
	v_and_b32_e32 v7, 0xffff, v7
	v_sub_nc_u16 v13, v164, v243
	global_load_b128 v[41:44], v67, s[8:9] offset:3680
	v_mul_lo_u16 v3, 0xf0, v226
	v_sub_nc_u16 v21, v154, v6
	v_and_b32_e32 v6, 0xffff, v8
	v_sub_nc_u16 v14, v162, v244
	v_sub_nc_u16 v22, v152, v1
	v_and_b32_e32 v1, 0xffff, v2
	v_mul_lo_u16 v5, 0xf0, v94
	v_sub_nc_u16 v15, v160, v245
	v_lshlrev_b32_e32 v71, 4, v7
	v_and_b32_e32 v2, 0xffff, v13
	v_sub_nc_u16 v3, v158, v3
	v_lshlrev_b32_e32 v73, 4, v6
	v_lshlrev_b32_e32 v72, 4, v1
	v_and_b32_e32 v1, 0xffff, v14
	v_sub_nc_u16 v5, v156, v5
	v_mul_lo_u16 v4, 0xf0, v228
	global_load_b128 v[57:60], v71, s[8:9] offset:3680
	v_and_b32_e32 v6, 0xffff, v15
	global_load_b128 v[13:16], v72, s[8:9] offset:3680
	v_lshlrev_b32_e32 v87, 4, v2
	global_load_b128 v[29:32], v73, s[8:9] offset:3680
	v_and_b32_e32 v23, 0xffff, v3
	v_lshlrev_b32_e32 v86, 4, v1
	v_and_b32_e32 v25, 0xffff, v5
	v_sub_nc_u16 v33, v246, v4
	v_lshlrev_b32_e32 v88, 4, v6
	global_load_b128 v[1:4], v87, s[8:9] offset:3680
	v_and_b32_e32 v34, 0xffff, v21
	v_lshlrev_b32_e32 v65, 4, v23
	global_load_b128 v[5:8], v86, s[8:9] offset:3680
	v_and_b32_e32 v35, 0xffff, v22
	global_load_b128 v[21:24], v88, s[8:9] offset:3680
	v_lshlrev_b32_e32 v66, 4, v25
	v_and_b32_e32 v33, 0xffff, v33
	v_lshlrev_b32_e32 v68, 4, v34
	global_load_b128 v[25:28], v65, s[8:9] offset:3680
	v_lshlrev_b32_e32 v69, 4, v35
	global_load_b128 v[45:48], v66, s[8:9] offset:3680
	v_lshlrev_b32_e32 v70, 4, v33
	s_clause 0x2
	global_load_b128 v[49:52], v68, s[8:9] offset:3680
	global_load_b128 v[53:56], v69, s[8:9] offset:3680
	;; [unrolled: 1-line block ×3, first 2 shown]
	ds_load_b128 v[61:64], v182 offset:30720
	ds_load_b128 v[89:92], v182 offset:32768
	;; [unrolled: 1-line block ×3, first 2 shown]
	v_lshlrev_b64_e32 v[95:96], 4, v[146:147]
	v_cmp_lt_u32_e64 s0, 0xef, v146
	ds_load_b128 v[127:130], v182 offset:36864
	ds_load_b128 v[131:134], v182
	v_lshlrev_b64_e32 v[101:102], 4, v[148:149]
	ds_load_b128 v[135:138], v182 offset:38912
	v_lshrrev_b32_e32 v108, 24, v75
	s_wait_alu 0xf1ff
	v_cndmask_b32_e64 v141, 0, 0x1e00, s0
	v_add_co_u32 v103, s0, s8, v95
	s_wait_alu 0xf1ff
	v_add_co_ci_u32_e64 v104, s0, s9, v96, s0
	v_lshrrev_b32_e32 v147, 24, v76
	ds_load_b128 v[74:77], v182 offset:40960
	ds_load_b128 v[174:177], v182 offset:43008
	v_lshrrev_b32_e32 v110, 24, v78
	v_lshrrev_b32_e32 v226, 24, v80
	;; [unrolled: 1-line block ×4, first 2 shown]
	ds_load_b128 v[78:81], v182 offset:45056
	ds_load_b128 v[178:181], v182 offset:47104
	;; [unrolled: 1-line block ×8, first 2 shown]
	v_add_co_u32 v101, s0, s8, v101
	s_wait_alu 0xf1ff
	v_add_co_ci_u32_e64 v102, s0, s9, v102, s0
	v_add_nc_u32_e32 v93, 0xffffffa0, v0
	v_cmp_gt_u32_e64 s0, 0x1e0, v172
	v_lshlrev_b32_e32 v229, 4, v97
	v_mul_lo_u16 v237, 0x1e0, v108
	v_add_nc_u32_e32 v71, 0, v71
	v_add_nc_u32_e32 v72, 0, v72
	s_wait_alu 0xf1ff
	v_cndmask_b32_e64 v97, v93, v172, s0
	v_add_nc_u32_e32 v86, 0, v86
	v_mul_lo_u16 v236, 0x1e0, v109
	v_mul_lo_u16 v147, 0x1e0, v147
	;; [unrolled: 1-line block ×4, first 2 shown]
	s_wait_loadcnt_dscnt 0xe0f
	v_mul_f64_e32 v[95:96], v[63:64], v[11:12]
	s_wait_loadcnt_dscnt 0xd0e
	v_mul_f64_e32 v[106:107], v[91:92], v[19:20]
	v_mul_f64_e32 v[19:20], v[89:90], v[19:20]
	s_wait_loadcnt_dscnt 0xc0d
	v_mul_f64_e32 v[139:140], v[125:126], v[39:40]
	v_mul_f64_e32 v[39:40], v[123:124], v[39:40]
	;; [unrolled: 1-line block ×3, first 2 shown]
	s_wait_loadcnt_dscnt 0xb0c
	v_mul_f64_e32 v[149:150], v[129:130], v[43:44]
	v_mul_f64_e32 v[43:44], v[127:128], v[43:44]
	s_wait_loadcnt_dscnt 0xa0a
	v_mul_f64_e32 v[212:213], v[137:138], v[59:60]
	v_mul_f64_e32 v[59:60], v[135:136], v[59:60]
	;; [unrolled: 3-line block ×3, first 2 shown]
	s_wait_loadcnt 0x8
	v_mul_f64_e32 v[214:215], v[76:77], v[31:32]
	v_mul_f64_e32 v[31:32], v[74:75], v[31:32]
	v_fma_f64 v[61:62], v[61:62], v[9:10], v[95:96]
	s_wait_loadcnt_dscnt 0x707
	v_mul_f64_e32 v[95:96], v[80:81], v[3:4]
	v_mul_f64_e32 v[3:4], v[78:79], v[3:4]
	v_fma_f64 v[91:92], v[91:92], v[17:18], -v[19:20]
	s_wait_loadcnt_dscnt 0x606
	v_mul_f64_e32 v[220:221], v[180:181], v[7:8]
	v_mul_f64_e32 v[222:223], v[178:179], v[7:8]
	s_wait_loadcnt_dscnt 0x505
	v_mul_f64_e32 v[19:20], v[190:191], v[23:24]
	v_mul_f64_e32 v[23:24], v[188:189], v[23:24]
	v_fma_f64 v[89:90], v[89:90], v[17:18], v[106:107]
	v_fma_f64 v[125:126], v[125:126], v[37:38], -v[39:40]
	s_wait_loadcnt_dscnt 0x404
	v_mul_f64_e32 v[106:107], v[194:195], v[27:28]
	v_mul_f64_e32 v[224:225], v[192:193], v[27:28]
	s_wait_loadcnt_dscnt 0x303
	v_mul_f64_e32 v[39:40], v[198:199], v[47:48]
	v_mul_f64_e32 v[47:48], v[196:197], v[47:48]
	v_fma_f64 v[123:124], v[123:124], v[37:38], v[139:140]
	s_wait_loadcnt_dscnt 0x202
	v_mul_f64_e32 v[139:140], v[202:203], v[51:52]
	v_mul_f64_e32 v[51:52], v[200:201], v[51:52]
	v_fma_f64 v[127:128], v[127:128], v[41:42], v[149:150]
	v_fma_f64 v[129:130], v[129:130], v[41:42], -v[43:44]
	s_wait_loadcnt_dscnt 0x101
	v_mul_f64_e32 v[41:42], v[206:207], v[55:56]
	v_mul_f64_e32 v[43:44], v[204:205], v[55:56]
	s_wait_loadcnt_dscnt 0x0
	v_mul_f64_e32 v[55:56], v[210:211], v[35:36]
	v_mul_f64_e32 v[149:150], v[208:209], v[35:36]
	v_fma_f64 v[63:64], v[63:64], v[9:10], -v[11:12]
	ds_load_b128 v[7:10], v114
	ds_load_b128 v[15:18], v113
	v_fma_f64 v[93:94], v[135:136], v[57:58], v[212:213]
	v_fma_f64 v[135:136], v[137:138], v[57:58], -v[59:60]
	v_fma_f64 v[174:175], v[174:175], v[13:14], v[216:217]
	v_fma_f64 v[176:177], v[176:177], v[13:14], -v[218:219]
	v_fma_f64 v[137:138], v[74:75], v[29:30], v[214:215]
	v_fma_f64 v[212:213], v[76:77], v[29:30], -v[31:32]
	ds_load_b128 v[11:14], v111
	ds_load_b128 v[27:30], v112
	;; [unrolled: 1-line block ×3, first 2 shown]
	v_add_f64_e64 v[59:60], v[131:132], -v[61:62]
	v_fma_f64 v[214:215], v[78:79], v[1:2], v[95:96]
	v_fma_f64 v[216:217], v[80:81], v[1:2], -v[3:4]
	v_fma_f64 v[178:179], v[178:179], v[5:6], v[220:221]
	v_fma_f64 v[5:6], v[180:181], v[5:6], -v[222:223]
	;; [unrolled: 2-line block ×3, first 2 shown]
	s_wait_dscnt 0x4
	v_add_f64_e64 v[74:75], v[7:8], -v[89:90]
	v_add_f64_e64 v[76:77], v[9:10], -v[91:92]
	v_fma_f64 v[190:191], v[192:193], v[25:26], v[106:107]
	v_fma_f64 v[192:193], v[194:195], v[25:26], -v[224:225]
	v_fma_f64 v[194:195], v[196:197], v[45:46], v[39:40]
	v_fma_f64 v[196:197], v[198:199], v[45:46], -v[47:48]
	s_wait_dscnt 0x3
	v_add_f64_e64 v[78:79], v[15:16], -v[123:124]
	v_fma_f64 v[139:140], v[200:201], v[49:50], v[139:140]
	v_fma_f64 v[198:199], v[202:203], v[49:50], -v[51:52]
	v_add_f64_e64 v[80:81], v[17:18], -v[125:126]
	s_wait_dscnt 0x2
	v_add_f64_e64 v[82:83], v[11:12], -v[127:128]
	v_fma_f64 v[200:201], v[204:205], v[53:54], v[41:42]
	v_fma_f64 v[202:203], v[206:207], v[53:54], -v[43:44]
	v_fma_f64 v[204:205], v[208:209], v[33:34], v[55:56]
	v_fma_f64 v[149:150], v[210:211], v[33:34], -v[149:150]
	ds_load_b128 v[1:4], v119
	ds_load_b128 v[19:22], v118
	;; [unrolled: 1-line block ×9, first 2 shown]
	v_add_f64_e64 v[61:62], v[133:134], -v[63:64]
	v_add_f64_e64 v[84:85], v[13:14], -v[129:130]
	v_add3_u32 v63, 0, v141, v229
	v_add3_u32 v64, 0, v230, v67
	;; [unrolled: 1-line block ×3, first 2 shown]
	s_wait_dscnt 0xa
	v_add_f64_e64 v[89:90], v[27:28], -v[93:94]
	v_add_f64_e64 v[91:92], v[29:30], -v[135:136]
	v_add3_u32 v73, 0, v232, v87
	v_add3_u32 v87, 0, v233, v88
	s_wait_dscnt 0x9
	v_add_f64_e64 v[93:94], v[35:36], -v[137:138]
	v_add_f64_e64 v[95:96], v[37:38], -v[212:213]
	s_wait_dscnt 0x8
	v_add_f64_e64 v[105:106], v[1:2], -v[174:175]
	v_add_f64_e64 v[107:108], v[3:4], -v[176:177]
	global_wb scope:SCOPE_SE
	s_wait_dscnt 0x0
	v_fma_f64 v[131:132], v[131:132], 2.0, -v[59:60]
	v_add_f64_e64 v[123:124], v[19:20], -v[214:215]
	v_add_f64_e64 v[125:126], v[21:22], -v[216:217]
	s_barrier_signal -1
	v_add_f64_e64 v[127:128], v[23:24], -v[178:179]
	v_add_f64_e64 v[129:130], v[25:26], -v[5:6]
	;; [unrolled: 1-line block ×4, first 2 shown]
	v_fma_f64 v[5:6], v[7:8], 2.0, -v[74:75]
	v_fma_f64 v[7:8], v[9:10], 2.0, -v[76:77]
	v_add_f64_e64 v[174:175], v[39:40], -v[190:191]
	v_add_f64_e64 v[176:177], v[41:42], -v[192:193]
	;; [unrolled: 1-line block ×4, first 2 shown]
	v_fma_f64 v[15:16], v[15:16], 2.0, -v[78:79]
	v_add_f64_e64 v[188:189], v[47:48], -v[139:140]
	v_add_f64_e64 v[190:191], v[49:50], -v[198:199]
	v_fma_f64 v[17:18], v[17:18], 2.0, -v[80:81]
	v_fma_f64 v[9:10], v[11:12], 2.0, -v[82:83]
	v_add_f64_e64 v[192:193], v[51:52], -v[200:201]
	v_add_f64_e64 v[194:195], v[53:54], -v[202:203]
	;; [unrolled: 1-line block ×4, first 2 shown]
	s_barrier_wait -1
	v_fma_f64 v[133:134], v[133:134], 2.0, -v[61:62]
	v_fma_f64 v[11:12], v[13:14], 2.0, -v[84:85]
	v_add_nc_u32_e32 v13, 0, v65
	v_add3_u32 v14, 0, v234, v66
	v_add_nc_u32_e32 v65, 0, v68
	v_fma_f64 v[27:28], v[27:28], 2.0, -v[89:90]
	v_fma_f64 v[29:30], v[29:30], 2.0, -v[91:92]
	v_add3_u32 v66, 0, v235, v69
	v_add_nc_u32_e32 v68, 0, v70
	v_fma_f64 v[35:36], v[35:36], 2.0, -v[93:94]
	v_fma_f64 v[37:38], v[37:38], 2.0, -v[95:96]
	;; [unrolled: 1-line block ×4, first 2 shown]
	global_inv scope:SCOPE_SE
	v_lshlrev_b64_e32 v[140:141], 4, v[172:173]
	v_fma_f64 v[19:20], v[19:20], 2.0, -v[123:124]
	v_fma_f64 v[21:22], v[21:22], 2.0, -v[125:126]
	v_lshlrev_b64_e32 v[149:150], 4, v[170:171]
	v_fma_f64 v[23:24], v[23:24], 2.0, -v[127:128]
	v_fma_f64 v[25:26], v[25:26], 2.0, -v[129:130]
	;; [unrolled: 1-line block ×4, first 2 shown]
	v_lshlrev_b64_e32 v[224:225], 4, v[166:167]
	v_lshlrev_b64_e32 v[222:223], 4, v[168:169]
	v_fma_f64 v[39:40], v[39:40], 2.0, -v[174:175]
	v_fma_f64 v[41:42], v[41:42], 2.0, -v[176:177]
	;; [unrolled: 1-line block ×10, first 2 shown]
	ds_store_b128 v182, v[59:62] offset:3840
	ds_store_b128 v182, v[131:134]
	ds_store_b128 v63, v[5:8]
	ds_store_b128 v63, v[74:77] offset:3840
	ds_store_b128 v182, v[15:18] offset:7936
	ds_store_b128 v182, v[78:81] offset:11776
	ds_store_b128 v64, v[9:12]
	ds_store_b128 v64, v[82:85] offset:3840
	ds_store_b128 v71, v[27:30] offset:15360
	ds_store_b128 v71, v[89:92] offset:19200
	ds_store_b128 v67, v[35:38]
	ds_store_b128 v67, v[93:96] offset:3840
	ds_store_b128 v72, v[1:4] offset:23040
	ds_store_b128 v72, v[105:108] offset:26880
	ds_store_b128 v73, v[19:22]
	ds_store_b128 v73, v[123:126] offset:3840
	ds_store_b128 v86, v[23:26] offset:30720
	ds_store_b128 v86, v[127:130] offset:34560
	ds_store_b128 v87, v[31:34]
	ds_store_b128 v87, v[135:138] offset:3840
	ds_store_b128 v13, v[39:42] offset:38400
	ds_store_b128 v13, v[174:177] offset:42240
	ds_store_b128 v14, v[43:46]
	ds_store_b128 v14, v[178:181] offset:3840
	ds_store_b128 v65, v[47:50] offset:46080
	ds_store_b128 v65, v[188:191] offset:49920
	ds_store_b128 v66, v[51:54]
	ds_store_b128 v66, v[192:195] offset:3840
	ds_store_b128 v68, v[55:58] offset:53760
	ds_store_b128 v68, v[196:199] offset:57600
	global_wb scope:SCOPE_SE
	s_wait_dscnt 0x0
	s_barrier_signal -1
	s_barrier_wait -1
	global_inv scope:SCOPE_SE
	global_load_b128 v[61:64], v[99:100], off offset:7520
	v_lshlrev_b64_e32 v[1:2], 4, v[97:98]
	v_mul_lo_u16 v3, 0x1e0, v227
	v_sub_nc_u16 v5, v164, v236
	v_mul_lo_u16 v4, 0x1e0, v228
	v_sub_nc_u16 v6, v162, v237
	global_load_b128 v[65:68], v[103:104], off offset:7520
	v_add_co_u32 v1, s0, s8, v1
	s_wait_alu 0xf1ff
	v_add_co_ci_u32_e64 v2, s0, s9, v2, s0
	v_sub_nc_u16 v7, v160, v147
	v_sub_nc_u16 v9, v156, v238
	;; [unrolled: 1-line block ×3, first 2 shown]
	global_load_b128 v[29:32], v[1:2], off offset:7520
	v_sub_nc_u16 v17, v152, v3
	s_clause 0x1
	global_load_b128 v[25:28], v[101:102], off offset:7520
	global_load_b128 v[13:16], v[99:100], off offset:12128
	v_and_b32_e32 v3, 0xffff, v5
	v_sub_nc_u16 v8, v158, v151
	v_sub_nc_u16 v37, v246, v4
	v_and_b32_e32 v4, 0xffff, v6
	v_and_b32_e32 v5, 0xffff, v7
	global_load_b128 v[33:36], v[99:100], off offset:8032
	v_and_b32_e32 v21, 0xffff, v9
	v_and_b32_e32 v38, 0xffff, v10
	global_load_b128 v[9:12], v[99:100], off offset:10080
	v_lshlrev_b32_e32 v129, 4, v3
	v_and_b32_e32 v6, 0xffff, v8
	v_lshlrev_b32_e32 v128, 4, v4
	v_lshlrev_b32_e32 v123, 4, v5
	v_and_b32_e32 v41, 0xffff, v17
	global_load_b128 v[1:4], v129, s[8:9] offset:7520
	v_lshlrev_b32_e32 v124, 4, v6
	global_load_b128 v[5:8], v128, s[8:9] offset:7520
	v_lshlrev_b32_e32 v130, 4, v21
	global_load_b128 v[17:20], v123, s[8:9] offset:7520
	v_and_b32_e32 v42, 0xffff, v37
	global_load_b128 v[21:24], v124, s[8:9] offset:7520
	v_lshlrev_b32_e32 v125, 4, v38
	global_load_b128 v[37:40], v130, s[8:9] offset:7520
	v_lshlrev_b32_e32 v126, 4, v41
	v_lshlrev_b32_e32 v127, 4, v42
	v_cmp_lt_u32_e64 s0, 0x1df, v172
	s_clause 0x2
	global_load_b128 v[45:48], v125, s[8:9] offset:7520
	global_load_b128 v[49:52], v126, s[8:9] offset:7520
	global_load_b128 v[41:44], v127, s[8:9] offset:7520
	ds_load_b128 v[89:92], v182 offset:30720
	ds_load_b128 v[85:88], v182 offset:32768
	;; [unrolled: 1-line block ×3, first 2 shown]
	ds_load_b128 v[53:56], v182
	ds_load_b128 v[81:84], v182 offset:36864
	ds_load_b128 v[77:80], v182 offset:38912
	;; [unrolled: 1-line block ×12, first 2 shown]
	v_mul_u32_u24_e32 v151, 0x3c00, v109
	v_mul_u32_u24_e32 v226, 0x3c00, v110
	s_wait_alu 0xf1ff
	v_cndmask_b32_e64 v131, 0, 0x3c00, s0
	v_lshlrev_b32_e32 v97, 4, v97
	v_add_nc_u32_e32 v147, 0xfffffc40, v164
	v_lshlrev_b64_e32 v[154:155], 4, v[154:155]
	s_delay_alu instid0(VALU_DEP_3)
	v_add3_u32 v97, 0, v131, v97
	s_wait_loadcnt_dscnt 0xe0f
	v_mul_f64_e32 v[105:106], v[91:92], v[63:64]
	v_mul_f64_e32 v[107:108], v[89:90], v[63:64]
	s_wait_loadcnt_dscnt 0xd0e
	v_mul_f64_e32 v[63:64], v[87:88], v[67:68]
	v_mul_f64_e32 v[67:68], v[85:86], v[67:68]
	;; [unrolled: 3-line block ×3, first 2 shown]
	s_wait_loadcnt 0xb
	v_mul_f64_e32 v[196:197], v[59:60], v[27:28]
	v_mul_f64_e32 v[27:28], v[57:58], v[27:28]
	s_wait_loadcnt_dscnt 0xa08
	v_mul_f64_e32 v[204:205], v[71:72], v[15:16]
	v_mul_f64_e32 v[15:16], v[69:70], v[15:16]
	s_wait_loadcnt 0x9
	v_mul_f64_e32 v[200:201], v[79:80], v[35:36]
	v_mul_f64_e32 v[35:36], v[77:78], v[35:36]
	s_wait_loadcnt 0x8
	v_mul_f64_e32 v[202:203], v[75:76], v[11:12]
	v_mul_f64_e32 v[11:12], v[73:74], v[11:12]
	s_wait_loadcnt_dscnt 0x707
	v_mul_f64_e32 v[206:207], v[95:96], v[3:4]
	v_mul_f64_e32 v[3:4], v[93:94], v[3:4]
	s_wait_loadcnt_dscnt 0x606
	;; [unrolled: 3-line block ×4, first 2 shown]
	v_mul_f64_e32 v[214:215], v[172:173], v[23:24]
	v_mul_f64_e32 v[216:217], v[170:171], v[23:24]
	v_fma_f64 v[89:90], v[89:90], v[61:62], v[105:106]
	s_wait_loadcnt_dscnt 0x303
	v_mul_f64_e32 v[105:106], v[176:177], v[39:40]
	v_mul_f64_e32 v[39:40], v[174:175], v[39:40]
	v_fma_f64 v[91:92], v[91:92], v[61:62], -v[107:108]
	s_wait_loadcnt_dscnt 0x202
	v_mul_f64_e32 v[107:108], v[180:181], v[47:48]
	v_mul_f64_e32 v[47:48], v[178:179], v[47:48]
	s_wait_loadcnt_dscnt 0x101
	v_mul_f64_e32 v[218:219], v[190:191], v[51:52]
	v_mul_f64_e32 v[51:52], v[188:189], v[51:52]
	;; [unrolled: 3-line block ×3, first 2 shown]
	v_fma_f64 v[85:86], v[85:86], v[65:66], v[63:64]
	v_fma_f64 v[87:88], v[87:88], v[65:66], -v[67:68]
	v_fma_f64 v[81:82], v[81:82], v[29:30], v[198:199]
	v_fma_f64 v[83:84], v[83:84], v[29:30], -v[31:32]
	;; [unrolled: 2-line block ×3, first 2 shown]
	ds_load_b128 v[23:26], v114
	ds_load_b128 v[57:60], v113
	;; [unrolled: 1-line block ×4, first 2 shown]
	v_fma_f64 v[168:169], v[77:78], v[33:34], v[200:201]
	v_fma_f64 v[196:197], v[79:80], v[33:34], -v[35:36]
	ds_load_b128 v[31:34], v119
	ds_load_b128 v[65:68], v118
	v_fma_f64 v[198:199], v[73:74], v[9:10], v[202:203]
	v_fma_f64 v[200:201], v[75:76], v[9:10], -v[11:12]
	v_fma_f64 v[202:203], v[69:70], v[13:14], v[204:205]
	v_fma_f64 v[204:205], v[71:72], v[13:14], -v[15:16]
	ds_load_b128 v[7:10], v187
	v_fma_f64 v[93:94], v[93:94], v[1:2], v[206:207]
	v_fma_f64 v[95:96], v[95:96], v[1:2], -v[3:4]
	v_fma_f64 v[132:133], v[132:133], v[5:6], v[208:209]
	v_fma_f64 v[5:6], v[134:135], v[5:6], -v[210:211]
	;; [unrolled: 2-line block ×4, first 2 shown]
	v_lshlrev_b64_e32 v[216:217], 4, v[160:161]
	v_fma_f64 v[105:106], v[174:175], v[37:38], v[105:106]
	v_fma_f64 v[174:175], v[176:177], v[37:38], -v[39:40]
	v_fma_f64 v[107:108], v[178:179], v[45:46], v[107:108]
	v_fma_f64 v[176:177], v[180:181], v[45:46], -v[47:48]
	;; [unrolled: 2-line block ×4, first 2 shown]
	v_add_f64_e64 v[47:48], v[53:54], -v[89:90]
	v_add_f64_e64 v[49:50], v[55:56], -v[91:92]
	ds_load_b128 v[1:4], v117
	ds_load_b128 v[11:14], v116
	;; [unrolled: 1-line block ×7, first 2 shown]
	s_wait_dscnt 0xd
	v_add_f64_e64 v[69:70], v[23:24], -v[85:86]
	v_add_f64_e64 v[71:72], v[25:26], -v[87:88]
	s_wait_dscnt 0xc
	v_add_f64_e64 v[73:74], v[57:58], -v[109:110]
	v_add_f64_e64 v[75:76], v[59:60], -v[166:167]
	;; [unrolled: 3-line block ×3, first 2 shown]
	v_add_nc_u32_e32 v109, 0, v128
	v_add_nc_u32_e32 v110, 0, v127
	s_wait_dscnt 0xa
	v_add_f64_e64 v[81:82], v[61:62], -v[168:169]
	v_add_f64_e64 v[83:84], v[63:64], -v[196:197]
	global_wb scope:SCOPE_SE
	s_wait_dscnt 0x0
	v_add_f64_e64 v[85:86], v[7:8], -v[198:199]
	v_add_f64_e64 v[87:88], v[9:10], -v[200:201]
	;; [unrolled: 1-line block ×4, first 2 shown]
	s_barrier_signal -1
	s_barrier_wait -1
	v_add_f64_e64 v[93:94], v[65:66], -v[93:94]
	v_add_f64_e64 v[95:96], v[67:68], -v[95:96]
	v_add_f64_e64 v[132:133], v[1:2], -v[132:133]
	v_add_f64_e64 v[134:135], v[3:4], -v[5:6]
	v_add_f64_e64 v[136:137], v[11:12], -v[136:137]
	v_add_f64_e64 v[138:139], v[13:14], -v[138:139]
	v_add_f64_e64 v[166:167], v[15:16], -v[170:171]
	v_add_f64_e64 v[168:169], v[17:18], -v[172:173]
	global_inv scope:SCOPE_SE
	v_add_f64_e64 v[170:171], v[19:20], -v[105:106]
	v_add_f64_e64 v[172:173], v[21:22], -v[174:175]
	v_add3_u32 v105, 0, v151, v129
	v_add_f64_e64 v[174:175], v[35:36], -v[107:108]
	v_add_f64_e64 v[176:177], v[37:38], -v[176:177]
	v_add_f64_e64 v[178:179], v[39:40], -v[178:179]
	v_add_f64_e64 v[180:181], v[41:42], -v[51:52]
	v_add_f64_e64 v[188:189], v[43:44], -v[188:189]
	v_add_f64_e64 v[190:191], v[45:46], -v[190:191]
	v_fma_f64 v[51:52], v[53:54], 2.0, -v[47:48]
	v_fma_f64 v[53:54], v[55:56], 2.0, -v[49:50]
	v_add3_u32 v106, 0, v226, v130
	v_fma_f64 v[23:24], v[23:24], 2.0, -v[69:70]
	v_fma_f64 v[25:26], v[25:26], 2.0, -v[71:72]
	;; [unrolled: 1-line block ×6, first 2 shown]
	v_add_co_u32 v107, s0, s8, v140
	v_fma_f64 v[59:60], v[61:62], 2.0, -v[81:82]
	v_fma_f64 v[61:62], v[63:64], 2.0, -v[83:84]
	s_wait_alu 0xf1ff
	v_add_co_ci_u32_e64 v108, s0, s9, v141, s0
	v_fma_f64 v[5:6], v[7:8], 2.0, -v[85:86]
	v_fma_f64 v[7:8], v[9:10], 2.0, -v[87:88]
	v_fma_f64 v[31:32], v[31:32], 2.0, -v[89:90]
	v_fma_f64 v[33:34], v[33:34], 2.0, -v[91:92]
	v_lshlrev_b64_e32 v[218:219], 4, v[158:159]
	v_fma_f64 v[63:64], v[65:66], 2.0, -v[93:94]
	v_fma_f64 v[65:66], v[67:68], 2.0, -v[95:96]
	;; [unrolled: 1-line block ×8, first 2 shown]
	v_add_nc_u32_e32 v67, 0, v125
	v_fma_f64 v[17:18], v[19:20], 2.0, -v[170:171]
	v_fma_f64 v[19:20], v[21:22], 2.0, -v[172:173]
	v_add_nc_u32_e32 v21, 0, v123
	v_fma_f64 v[35:36], v[35:36], 2.0, -v[174:175]
	v_fma_f64 v[37:38], v[37:38], 2.0, -v[176:177]
	;; [unrolled: 1-line block ×6, first 2 shown]
	v_add_nc_u32_e32 v22, 0, v124
	v_add_nc_u32_e32 v68, 0, v126
	ds_store_b128 v182, v[47:50] offset:7680
	ds_store_b128 v182, v[51:54]
	ds_store_b128 v114, v[23:26]
	ds_store_b128 v114, v[69:72] offset:7680
	ds_store_b128 v113, v[55:58]
	ds_store_b128 v113, v[73:76] offset:7680
	;; [unrolled: 2-line block ×3, first 2 shown]
	ds_store_b128 v182, v[59:62] offset:15872
	ds_store_b128 v182, v[5:8] offset:17920
	;; [unrolled: 1-line block ×6, first 2 shown]
	ds_store_b128 v105, v[63:66]
	ds_store_b128 v105, v[93:96] offset:7680
	ds_store_b128 v109, v[1:4] offset:30720
	;; [unrolled: 1-line block ×7, first 2 shown]
	ds_store_b128 v106, v[17:20]
	ds_store_b128 v106, v[170:173] offset:7680
	ds_store_b128 v67, v[35:38] offset:46080
	;; [unrolled: 1-line block ×7, first 2 shown]
	global_wb scope:SCOPE_SE
	s_wait_dscnt 0x0
	s_barrier_signal -1
	s_barrier_wait -1
	global_inv scope:SCOPE_SE
	s_clause 0x1
	global_load_b128 v[41:44], v[99:100], off offset:15200
	global_load_b128 v[25:28], v[101:102], off offset:15200
	v_add_co_u32 v105, s0, s8, v149
	s_wait_alu 0xf1ff
	v_add_co_ci_u32_e64 v106, s0, s9, v150, s0
	v_cmp_gt_u32_e64 s0, 0x3c0, v164
	s_clause 0x2
	global_load_b128 v[21:24], v[103:104], off offset:15200
	global_load_b128 v[17:20], v[107:108], off offset:15200
	global_load_b128 v[1:4], v[105:106], off offset:15200
	v_lshlrev_b64_e32 v[139:140], 4, v[164:165]
	v_lshlrev_b64_e32 v[220:221], 4, v[156:157]
	s_wait_alu 0xf1ff
	v_cndmask_b32_e64 v97, v147, v164, s0
	v_add_co_u32 v95, s0, s8, v222
	s_wait_alu 0xf1ff
	v_add_co_ci_u32_e64 v96, s0, s9, v223, s0
	s_delay_alu instid0(VALU_DEP_3) | instskip(SKIP_4) | instid1(VALU_DEP_4)
	v_lshlrev_b64_e32 v[5:6], 4, v[97:98]
	v_add_co_u32 v93, s0, s8, v224
	s_wait_alu 0xf1ff
	v_add_co_ci_u32_e64 v94, s0, s9, v225, s0
	v_lshlrev_b32_e32 v97, 4, v97
	v_add_co_u32 v13, s0, s8, v5
	s_wait_alu 0xf1ff
	v_add_co_ci_u32_e64 v14, s0, s9, v6, s0
	s_clause 0x9
	global_load_b128 v[9:12], v[95:96], off offset:15200
	global_load_b128 v[5:8], v[93:94], off offset:15200
	;; [unrolled: 1-line block ×10, first 2 shown]
	ds_load_b128 v[85:88], v182 offset:30720
	ds_load_b128 v[81:84], v182 offset:32768
	;; [unrolled: 1-line block ×6, first 2 shown]
	ds_load_b128 v[33:36], v182
	ds_load_b128 v[89:92], v182 offset:43008
	ds_load_b128 v[123:126], v182 offset:45056
	;; [unrolled: 1-line block ×4, first 2 shown]
	v_cmp_lt_u32_e64 s0, 0x3bf, v164
	ds_load_b128 v[135:138], v182 offset:53248
	ds_load_b128 v[164:167], v182 offset:55296
	;; [unrolled: 1-line block ×5, first 2 shown]
	s_wait_alu 0xf1ff
	v_cndmask_b32_e64 v98, 0, 0x7800, s0
	s_wait_loadcnt_dscnt 0xe0f
	v_mul_f64_e32 v[109:110], v[87:88], v[43:44]
	v_mul_f64_e32 v[43:44], v[85:86], v[43:44]
	s_wait_loadcnt_dscnt 0xd0d
	v_mul_f64_e32 v[180:181], v[79:80], v[27:28]
	v_mul_f64_e32 v[27:28], v[77:78], v[27:28]
	s_wait_loadcnt 0xc
	v_mul_f64_e32 v[149:150], v[83:84], v[23:24]
	v_mul_f64_e32 v[23:24], v[81:82], v[23:24]
	s_wait_loadcnt_dscnt 0xb0c
	v_mul_f64_e32 v[188:189], v[75:76], v[19:20]
	v_mul_f64_e32 v[190:191], v[73:74], v[19:20]
	s_wait_loadcnt_dscnt 0xa0b
	;; [unrolled: 3-line block ×11, first 2 shown]
	v_mul_f64_e32 v[214:215], v[178:179], v[63:64]
	v_fma_f64 v[85:86], v[85:86], v[41:42], v[109:110]
	v_fma_f64 v[87:88], v[87:88], v[41:42], -v[43:44]
	v_mul_f64_e32 v[43:44], v[176:177], v[63:64]
	s_wait_loadcnt 0x0
	v_mul_f64_e32 v[63:64], v[170:171], v[59:60]
	v_mul_f64_e32 v[59:60], v[168:169], v[59:60]
	v_fma_f64 v[27:28], v[79:80], v[25:26], -v[27:28]
	v_lshlrev_b64_e32 v[109:110], 4, v[162:163]
	v_fma_f64 v[81:82], v[81:82], v[21:22], v[149:150]
	v_fma_f64 v[83:84], v[83:84], v[21:22], -v[23:24]
	v_fma_f64 v[149:150], v[77:78], v[25:26], v[180:181]
	v_fma_f64 v[156:157], v[73:74], v[17:18], v[188:189]
	v_fma_f64 v[158:159], v[75:76], v[17:18], -v[190:191]
	v_fma_f64 v[160:161], v[65:66], v[1:2], v[192:193]
	v_fma_f64 v[162:163], v[67:68], v[1:2], -v[3:4]
	ds_load_b128 v[19:22], v114
	ds_load_b128 v[39:42], v113
	ds_load_b128 v[23:26], v111
	ds_load_b128 v[77:80], v112
	ds_load_b128 v[15:18], v187
	ds_load_b128 v[73:76], v184
	v_fma_f64 v[180:181], v[69:70], v[9:10], v[194:195]
	v_fma_f64 v[71:72], v[71:72], v[9:10], -v[11:12]
	v_fma_f64 v[188:189], v[89:90], v[5:6], v[196:197]
	v_fma_f64 v[190:191], v[91:92], v[5:6], -v[7:8]
	;; [unrolled: 2-line block ×10, first 2 shown]
	ds_load_b128 v[1:4], v119
	ds_load_b128 v[5:8], v118
	;; [unrolled: 1-line block ×8, first 2 shown]
	v_add_f64_e64 v[59:60], v[33:34], -v[85:86]
	v_add_f64_e64 v[61:62], v[35:36], -v[87:88]
	s_wait_dscnt 0xd
	v_add_f64_e64 v[63:64], v[19:20], -v[81:82]
	v_add_f64_e64 v[65:66], v[21:22], -v[83:84]
	s_wait_dscnt 0xc
	;; [unrolled: 3-line block ×4, first 2 shown]
	v_add_f64_e64 v[85:86], v[77:78], -v[160:161]
	v_add_f64_e64 v[87:88], v[79:80], -v[162:163]
	v_add_co_u32 v27, s0, s8, v139
	s_wait_dscnt 0x9
	v_add_f64_e64 v[89:90], v[15:16], -v[180:181]
	v_add_f64_e64 v[91:92], v[17:18], -v[71:72]
	s_wait_dscnt 0x7
	v_add_f64_e64 v[123:124], v[1:2], -v[188:189]
	v_add_f64_e64 v[125:126], v[3:4], -v[190:191]
	;; [unrolled: 3-line block ×4, first 2 shown]
	v_add_f64_e64 v[135:136], v[73:74], -v[198:199]
	v_add_f64_e64 v[137:138], v[75:76], -v[37:38]
	s_wait_dscnt 0x3
	v_add_f64_e64 v[156:157], v[43:44], -v[200:201]
	v_add_f64_e64 v[158:159], v[45:46], -v[202:203]
	s_wait_dscnt 0x2
	;; [unrolled: 3-line block ×4, first 2 shown]
	v_add_f64_e64 v[168:169], v[55:56], -v[176:177]
	v_lshlrev_b64_e32 v[176:177], 4, v[152:153]
	global_wb scope:SCOPE_SE
	s_barrier_signal -1
	s_barrier_wait -1
	global_inv scope:SCOPE_SE
	v_add_f64_e64 v[170:171], v[57:58], -v[178:179]
	v_add_f64_e64 v[172:173], v[9:10], -v[204:205]
	;; [unrolled: 1-line block ×3, first 2 shown]
	s_wait_alu 0xf1ff
	v_add_co_ci_u32_e64 v28, s0, s9, v140, s0
	v_fma_f64 v[33:34], v[33:34], 2.0, -v[59:60]
	v_fma_f64 v[35:36], v[35:36], 2.0, -v[61:62]
	;; [unrolled: 1-line block ×10, first 2 shown]
	v_add_co_u32 v25, s0, s8, v109
	v_fma_f64 v[13:14], v[15:16], 2.0, -v[89:90]
	v_fma_f64 v[15:16], v[17:18], 2.0, -v[91:92]
	;; [unrolled: 1-line block ×17, first 2 shown]
	v_add3_u32 v17, 0, v98, v97
	s_wait_alu 0xf1ff
	v_add_co_ci_u32_e64 v26, s0, s9, v110, s0
	v_add_co_u32 v23, s0, s8, v216
	v_fma_f64 v[55:56], v[57:58], 2.0, -v[170:171]
	v_fma_f64 v[9:10], v[9:10], 2.0, -v[172:173]
	;; [unrolled: 1-line block ×3, first 2 shown]
	ds_store_b128 v182, v[59:62] offset:15360
	ds_store_b128 v182, v[33:36]
	ds_store_b128 v114, v[19:22]
	ds_store_b128 v114, v[63:66] offset:15360
	ds_store_b128 v113, v[37:40]
	ds_store_b128 v113, v[67:70] offset:15360
	;; [unrolled: 2-line block ×7, first 2 shown]
	ds_store_b128 v182, v[172:175] offset:47104
	ds_store_b128 v182, v[131:134] offset:49152
	;; [unrolled: 1-line block ×14, first 2 shown]
	global_wb scope:SCOPE_SE
	s_wait_dscnt 0x0
	s_barrier_signal -1
	s_barrier_wait -1
	global_inv scope:SCOPE_SE
	s_clause 0x3
	global_load_b128 v[1:4], v[99:100], off offset:30560
	global_load_b128 v[5:8], v[103:104], off offset:30560
	;; [unrolled: 1-line block ×4, first 2 shown]
	s_wait_alu 0xf1ff
	v_add_co_ci_u32_e64 v24, s0, s9, v217, s0
	v_add_co_u32 v21, s0, s8, v218
	s_wait_alu 0xf1ff
	v_add_co_ci_u32_e64 v22, s0, s9, v219, s0
	s_clause 0x3
	global_load_b128 v[33:36], v[105:106], off offset:30560
	global_load_b128 v[37:40], v[95:96], off offset:30560
	;; [unrolled: 1-line block ×4, first 2 shown]
	v_add_co_u32 v19, s0, s8, v220
	s_wait_alu 0xf1ff
	v_add_co_ci_u32_e64 v20, s0, s9, v221, s0
	v_lshlrev_b64_e32 v[178:179], 4, v[246:247]
	v_add_co_u32 v17, s0, s8, v154
	s_wait_alu 0xf1ff
	v_add_co_ci_u32_e64 v18, s0, s9, v155, s0
	v_add_co_u32 v15, s0, s8, v176
	s_clause 0x3
	global_load_b128 v[49:52], v[25:26], off offset:30560
	global_load_b128 v[53:56], v[23:24], off offset:30560
	;; [unrolled: 1-line block ×4, first 2 shown]
	s_wait_alu 0xf1ff
	v_add_co_ci_u32_e64 v16, s0, s9, v177, s0
	v_add_co_u32 v13, s0, s8, v178
	s_wait_alu 0xf1ff
	v_add_co_ci_u32_e64 v14, s0, s9, v179, s0
	s_clause 0x2
	global_load_b128 v[65:68], v[17:18], off offset:30560
	global_load_b128 v[69:72], v[15:16], off offset:30560
	;; [unrolled: 1-line block ×3, first 2 shown]
	ds_load_b128 v[77:80], v182 offset:30720
	ds_load_b128 v[81:84], v182 offset:32768
	;; [unrolled: 1-line block ×7, first 2 shown]
	ds_load_b128 v[135:138], v182
	ds_load_b128 v[149:152], v182 offset:45056
	ds_load_b128 v[153:156], v182 offset:47104
	;; [unrolled: 1-line block ×8, first 2 shown]
	v_cmp_ne_u32_e64 s0, 0, v0
	s_wait_loadcnt_dscnt 0xe0f
	v_mul_f64_e32 v[97:98], v[79:80], v[3:4]
	v_mul_f64_e32 v[3:4], v[77:78], v[3:4]
	s_wait_loadcnt_dscnt 0xd0e
	v_mul_f64_e32 v[109:110], v[83:84], v[7:8]
	v_mul_f64_e32 v[7:8], v[81:82], v[7:8]
	;; [unrolled: 3-line block ×15, first 2 shown]
	v_fma_f64 v[97:98], v[77:78], v[1:2], v[97:98]
	v_fma_f64 v[212:213], v[79:80], v[1:2], -v[3:4]
	v_fma_f64 v[109:110], v[81:82], v[5:6], v[109:110]
	v_fma_f64 v[83:84], v[83:84], v[5:6], -v[7:8]
	;; [unrolled: 2-line block ×8, first 2 shown]
	ds_load_b128 v[1:4], v114
	ds_load_b128 v[5:8], v113
	;; [unrolled: 1-line block ×5, first 2 shown]
	v_fma_f64 v[153:154], v[153:154], v[49:50], v[198:199]
	v_fma_f64 v[155:156], v[155:156], v[49:50], -v[51:52]
	v_fma_f64 v[157:158], v[157:158], v[53:54], v[200:201]
	v_fma_f64 v[159:160], v[159:160], v[53:54], -v[55:56]
	;; [unrolled: 2-line block ×4, first 2 shown]
	ds_load_b128 v[29:32], v119
	ds_load_b128 v[33:36], v118
	;; [unrolled: 1-line block ×9, first 2 shown]
	v_fma_f64 v[169:170], v[169:170], v[65:66], v[206:207]
	v_fma_f64 v[171:172], v[171:172], v[65:66], -v[67:68]
	v_fma_f64 v[173:174], v[173:174], v[69:70], v[208:209]
	v_fma_f64 v[175:176], v[175:176], v[69:70], -v[71:72]
	;; [unrolled: 2-line block ×3, first 2 shown]
	global_wb scope:SCOPE_SE
	s_wait_dscnt 0x0
	s_barrier_signal -1
	s_barrier_wait -1
	global_inv scope:SCOPE_SE
	v_add_f64_e64 v[65:66], v[135:136], -v[97:98]
	v_add_f64_e64 v[67:68], v[137:138], -v[212:213]
	;; [unrolled: 1-line block ×30, first 2 shown]
	v_fma_f64 v[135:136], v[135:136], 2.0, -v[65:66]
	v_fma_f64 v[137:138], v[137:138], 2.0, -v[67:68]
	;; [unrolled: 1-line block ×30, first 2 shown]
	ds_store_b128 v182, v[65:68] offset:30720
	ds_store_b128 v182, v[135:138]
	ds_store_b128 v114, v[1:4]
	ds_store_b128 v114, v[69:72] offset:30720
	ds_store_b128 v113, v[5:8]
	ds_store_b128 v113, v[83:86] offset:30720
	;; [unrolled: 2-line block ×14, first 2 shown]
	global_wb scope:SCOPE_SE
	s_wait_dscnt 0x0
	s_barrier_signal -1
	s_barrier_wait -1
	global_inv scope:SCOPE_SE
	ds_load_b128 v[9:12], v182
	v_sub_nc_u32_e32 v29, 0, v183
                                        ; implicit-def: $vgpr3_vgpr4
                                        ; implicit-def: $vgpr7_vgpr8
	s_and_saveexec_b32 s1, s0
	s_wait_alu 0xfffe
	s_xor_b32 s0, exec_lo, s1
	s_cbranch_execz .LBB0_15
; %bb.14:
	global_load_b128 v[3:6], v[99:100], off offset:61280
	ds_load_b128 v[30:33], v29 offset:61440
	s_wait_dscnt 0x0
	v_add_f64_e64 v[1:2], v[9:10], -v[30:31]
	v_add_f64_e32 v[7:8], v[11:12], v[32:33]
	v_add_f64_e64 v[11:12], v[11:12], -v[32:33]
	s_delay_alu instid0(VALU_DEP_3) | instskip(SKIP_1) | instid1(VALU_DEP_4)
	v_mul_f64_e32 v[32:33], 0.5, v[1:2]
	v_add_f64_e32 v[1:2], v[9:10], v[30:31]
	v_mul_f64_e32 v[9:10], 0.5, v[7:8]
	s_delay_alu instid0(VALU_DEP_4) | instskip(SKIP_1) | instid1(VALU_DEP_4)
	v_mul_f64_e32 v[7:8], 0.5, v[11:12]
	s_wait_loadcnt 0x0
	v_mul_f64_e32 v[11:12], v[32:33], v[5:6]
	s_delay_alu instid0(VALU_DEP_2) | instskip(NEXT) | instid1(VALU_DEP_2)
	v_fma_f64 v[30:31], v[9:10], v[5:6], v[7:8]
	v_fma_f64 v[34:35], v[1:2], 0.5, v[11:12]
	v_fma_f64 v[1:2], v[1:2], 0.5, -v[11:12]
	v_fma_f64 v[11:12], v[9:10], v[5:6], -v[7:8]
	s_delay_alu instid0(VALU_DEP_4) | instskip(NEXT) | instid1(VALU_DEP_4)
	v_fma_f64 v[7:8], -v[3:4], v[32:33], v[30:31]
	v_fma_f64 v[5:6], v[9:10], v[3:4], v[34:35]
	s_delay_alu instid0(VALU_DEP_4) | instskip(NEXT) | instid1(VALU_DEP_4)
	v_fma_f64 v[1:2], -v[9:10], v[3:4], v[1:2]
	v_fma_f64 v[3:4], -v[3:4], v[32:33], v[11:12]
                                        ; implicit-def: $vgpr9_vgpr10
.LBB0_15:
	s_wait_alu 0xfffe
	s_or_saveexec_b32 s0, s0
	v_mul_i32_i24_e32 v31, 0xffffff70, v146
	v_mul_i32_i24_e32 v30, 0xffffff70, v148
	s_wait_alu 0xfffe
	s_xor_b32 exec_lo, exec_lo, s0
	s_cbranch_execz .LBB0_17
; %bb.16:
	s_wait_dscnt 0x0
	v_add_f64_e32 v[5:6], v[9:10], v[11:12]
	v_add_f64_e64 v[1:2], v[9:10], -v[11:12]
	v_mov_b32_e32 v11, 0
	v_mov_b32_e32 v7, 0
	;; [unrolled: 1-line block ×3, first 2 shown]
	s_delay_alu instid0(VALU_DEP_2)
	v_mov_b32_e32 v3, v7
	ds_load_b64 v[9:10], v11 offset:30728
	v_mov_b32_e32 v4, v8
	s_wait_dscnt 0x0
	v_xor_b32_e32 v10, 0x80000000, v10
	ds_store_b64 v11, v[9:10] offset:30728
.LBB0_17:
	s_or_b32 exec_lo, exec_lo, s0
	s_wait_dscnt 0x0
	s_clause 0x1
	global_load_b128 v[9:12], v[103:104], off offset:61280
	global_load_b128 v[32:35], v[101:102], off offset:61280
	v_add_nc_u32_e32 v31, v186, v31
	ds_store_b128 v182, v[5:8]
	ds_store_b128 v29, v[1:4] offset:61440
	ds_load_b128 v[1:4], v31
	ds_load_b128 v[5:8], v29 offset:59392
	s_wait_dscnt 0x0
	v_add_f64_e64 v[36:37], v[1:2], -v[5:6]
	v_add_f64_e32 v[38:39], v[3:4], v[7:8]
	v_add_f64_e64 v[3:4], v[3:4], -v[7:8]
	v_add_f64_e32 v[1:2], v[1:2], v[5:6]
	s_delay_alu instid0(VALU_DEP_4) | instskip(NEXT) | instid1(VALU_DEP_4)
	v_mul_f64_e32 v[7:8], 0.5, v[36:37]
	v_mul_f64_e32 v[36:37], 0.5, v[38:39]
	s_delay_alu instid0(VALU_DEP_4) | instskip(SKIP_1) | instid1(VALU_DEP_3)
	v_mul_f64_e32 v[3:4], 0.5, v[3:4]
	s_wait_loadcnt 0x1
	v_mul_f64_e32 v[5:6], v[7:8], v[11:12]
	s_delay_alu instid0(VALU_DEP_2) | instskip(SKIP_1) | instid1(VALU_DEP_3)
	v_fma_f64 v[38:39], v[36:37], v[11:12], v[3:4]
	v_fma_f64 v[11:12], v[36:37], v[11:12], -v[3:4]
	v_fma_f64 v[40:41], v[1:2], 0.5, v[5:6]
	v_fma_f64 v[5:6], v[1:2], 0.5, -v[5:6]
	s_delay_alu instid0(VALU_DEP_4) | instskip(NEXT) | instid1(VALU_DEP_4)
	v_fma_f64 v[3:4], -v[9:10], v[7:8], v[38:39]
	v_fma_f64 v[7:8], -v[9:10], v[7:8], v[11:12]
	s_delay_alu instid0(VALU_DEP_4) | instskip(NEXT) | instid1(VALU_DEP_4)
	v_fma_f64 v[1:2], v[36:37], v[9:10], v[40:41]
	v_fma_f64 v[5:6], -v[36:37], v[9:10], v[5:6]
	global_load_b128 v[9:12], v[107:108], off offset:61280
	v_add_nc_u32_e32 v40, v185, v30
	ds_store_b128 v31, v[1:4]
	ds_store_b128 v29, v[5:8] offset:59392
	ds_load_b128 v[1:4], v40
	ds_load_b128 v[5:8], v29 offset:57344
	s_wait_dscnt 0x0
	v_add_f64_e64 v[30:31], v[1:2], -v[5:6]
	v_add_f64_e32 v[36:37], v[3:4], v[7:8]
	v_add_f64_e64 v[3:4], v[3:4], -v[7:8]
	v_add_f64_e32 v[1:2], v[1:2], v[5:6]
	s_delay_alu instid0(VALU_DEP_4) | instskip(NEXT) | instid1(VALU_DEP_4)
	v_mul_f64_e32 v[7:8], 0.5, v[30:31]
	v_mul_f64_e32 v[30:31], 0.5, v[36:37]
	s_delay_alu instid0(VALU_DEP_4) | instskip(SKIP_1) | instid1(VALU_DEP_3)
	v_mul_f64_e32 v[3:4], 0.5, v[3:4]
	s_wait_loadcnt 0x1
	v_mul_f64_e32 v[5:6], v[7:8], v[34:35]
	s_delay_alu instid0(VALU_DEP_2) | instskip(SKIP_1) | instid1(VALU_DEP_3)
	v_fma_f64 v[36:37], v[30:31], v[34:35], v[3:4]
	v_fma_f64 v[34:35], v[30:31], v[34:35], -v[3:4]
	v_fma_f64 v[38:39], v[1:2], 0.5, v[5:6]
	v_fma_f64 v[5:6], v[1:2], 0.5, -v[5:6]
	s_delay_alu instid0(VALU_DEP_4) | instskip(NEXT) | instid1(VALU_DEP_4)
	v_fma_f64 v[3:4], -v[32:33], v[7:8], v[36:37]
	v_fma_f64 v[7:8], -v[32:33], v[7:8], v[34:35]
	s_delay_alu instid0(VALU_DEP_4) | instskip(NEXT) | instid1(VALU_DEP_4)
	v_fma_f64 v[1:2], v[30:31], v[32:33], v[38:39]
	v_fma_f64 v[5:6], -v[30:31], v[32:33], v[5:6]
	global_load_b128 v[30:33], v[105:106], off offset:61280
	ds_store_b128 v40, v[1:4]
	ds_store_b128 v29, v[5:8] offset:57344
	ds_load_b128 v[1:4], v111
	ds_load_b128 v[5:8], v29 offset:55296
	s_wait_dscnt 0x0
	v_add_f64_e64 v[34:35], v[1:2], -v[5:6]
	v_add_f64_e32 v[36:37], v[3:4], v[7:8]
	v_add_f64_e64 v[3:4], v[3:4], -v[7:8]
	v_add_f64_e32 v[1:2], v[1:2], v[5:6]
	s_delay_alu instid0(VALU_DEP_4) | instskip(NEXT) | instid1(VALU_DEP_4)
	v_mul_f64_e32 v[7:8], 0.5, v[34:35]
	v_mul_f64_e32 v[34:35], 0.5, v[36:37]
	s_delay_alu instid0(VALU_DEP_4) | instskip(SKIP_1) | instid1(VALU_DEP_3)
	v_mul_f64_e32 v[3:4], 0.5, v[3:4]
	s_wait_loadcnt 0x1
	v_mul_f64_e32 v[5:6], v[7:8], v[11:12]
	s_delay_alu instid0(VALU_DEP_2) | instskip(SKIP_1) | instid1(VALU_DEP_3)
	v_fma_f64 v[36:37], v[34:35], v[11:12], v[3:4]
	v_fma_f64 v[11:12], v[34:35], v[11:12], -v[3:4]
	v_fma_f64 v[38:39], v[1:2], 0.5, v[5:6]
	v_fma_f64 v[5:6], v[1:2], 0.5, -v[5:6]
	s_delay_alu instid0(VALU_DEP_4) | instskip(NEXT) | instid1(VALU_DEP_4)
	v_fma_f64 v[3:4], -v[9:10], v[7:8], v[36:37]
	v_fma_f64 v[7:8], -v[9:10], v[7:8], v[11:12]
	s_delay_alu instid0(VALU_DEP_4) | instskip(NEXT) | instid1(VALU_DEP_4)
	v_fma_f64 v[1:2], v[34:35], v[9:10], v[38:39]
	v_fma_f64 v[5:6], -v[34:35], v[9:10], v[5:6]
	global_load_b128 v[9:12], v[95:96], off offset:61280
	;; [unrolled: 28-line block ×11, first 2 shown]
	ds_store_b128 v122, v[1:4]
	ds_store_b128 v29, v[5:8] offset:36864
	ds_load_b128 v[1:4], v121
	ds_load_b128 v[5:8], v29 offset:34816
	s_wait_dscnt 0x0
	v_add_f64_e64 v[17:18], v[1:2], -v[5:6]
	v_add_f64_e32 v[19:20], v[3:4], v[7:8]
	v_add_f64_e64 v[3:4], v[3:4], -v[7:8]
	v_add_f64_e32 v[1:2], v[1:2], v[5:6]
	s_delay_alu instid0(VALU_DEP_4) | instskip(NEXT) | instid1(VALU_DEP_4)
	v_mul_f64_e32 v[7:8], 0.5, v[17:18]
	v_mul_f64_e32 v[17:18], 0.5, v[19:20]
	s_delay_alu instid0(VALU_DEP_4) | instskip(SKIP_1) | instid1(VALU_DEP_3)
	v_mul_f64_e32 v[3:4], 0.5, v[3:4]
	s_wait_loadcnt 0x1
	v_mul_f64_e32 v[5:6], v[7:8], v[11:12]
	s_delay_alu instid0(VALU_DEP_2) | instskip(SKIP_1) | instid1(VALU_DEP_3)
	v_fma_f64 v[19:20], v[17:18], v[11:12], v[3:4]
	v_fma_f64 v[11:12], v[17:18], v[11:12], -v[3:4]
	v_fma_f64 v[21:22], v[1:2], 0.5, v[5:6]
	v_fma_f64 v[5:6], v[1:2], 0.5, -v[5:6]
	s_delay_alu instid0(VALU_DEP_4) | instskip(NEXT) | instid1(VALU_DEP_4)
	v_fma_f64 v[3:4], -v[9:10], v[7:8], v[19:20]
	v_fma_f64 v[7:8], -v[9:10], v[7:8], v[11:12]
	s_delay_alu instid0(VALU_DEP_4) | instskip(NEXT) | instid1(VALU_DEP_4)
	v_fma_f64 v[1:2], v[17:18], v[9:10], v[21:22]
	v_fma_f64 v[5:6], -v[17:18], v[9:10], v[5:6]
	ds_store_b128 v121, v[1:4]
	ds_store_b128 v29, v[5:8] offset:34816
	ds_load_b128 v[1:4], v120
	ds_load_b128 v[5:8], v29 offset:32768
	s_wait_dscnt 0x0
	v_add_f64_e64 v[9:10], v[1:2], -v[5:6]
	v_add_f64_e32 v[11:12], v[3:4], v[7:8]
	v_add_f64_e64 v[3:4], v[3:4], -v[7:8]
	v_add_f64_e32 v[1:2], v[1:2], v[5:6]
	s_delay_alu instid0(VALU_DEP_4) | instskip(NEXT) | instid1(VALU_DEP_4)
	v_mul_f64_e32 v[7:8], 0.5, v[9:10]
	v_mul_f64_e32 v[9:10], 0.5, v[11:12]
	s_delay_alu instid0(VALU_DEP_4) | instskip(SKIP_1) | instid1(VALU_DEP_3)
	v_mul_f64_e32 v[3:4], 0.5, v[3:4]
	s_wait_loadcnt 0x0
	v_mul_f64_e32 v[5:6], v[7:8], v[15:16]
	s_delay_alu instid0(VALU_DEP_2) | instskip(SKIP_1) | instid1(VALU_DEP_3)
	v_fma_f64 v[11:12], v[9:10], v[15:16], v[3:4]
	v_fma_f64 v[15:16], v[9:10], v[15:16], -v[3:4]
	v_fma_f64 v[17:18], v[1:2], 0.5, v[5:6]
	v_fma_f64 v[5:6], v[1:2], 0.5, -v[5:6]
	s_delay_alu instid0(VALU_DEP_4) | instskip(NEXT) | instid1(VALU_DEP_4)
	v_fma_f64 v[3:4], -v[13:14], v[7:8], v[11:12]
	v_fma_f64 v[7:8], -v[13:14], v[7:8], v[15:16]
	s_delay_alu instid0(VALU_DEP_4) | instskip(NEXT) | instid1(VALU_DEP_4)
	v_fma_f64 v[1:2], v[9:10], v[13:14], v[17:18]
	v_fma_f64 v[5:6], -v[9:10], v[13:14], v[5:6]
	ds_store_b128 v120, v[1:4]
	ds_store_b128 v29, v[5:8] offset:32768
	global_wb scope:SCOPE_SE
	s_wait_dscnt 0x0
	s_barrier_signal -1
	s_barrier_wait -1
	global_inv scope:SCOPE_SE
	s_and_saveexec_b32 s0, vcc_lo
	s_cbranch_execz .LBB0_20
; %bb.18:
	v_mul_lo_u32 v1, s3, v144
	v_mul_lo_u32 v4, s2, v145
	v_mad_co_u64_u32 v[2:3], null, s2, v144, 0
	v_lshl_add_u32 v30, v0, 4, 0
	v_lshlrev_b64_e32 v[12:13], 4, v[142:143]
	v_add_nc_u32_e32 v14, 0x80, v0
	v_add_nc_u32_e32 v28, 0x300, v0
	;; [unrolled: 1-line block ×3, first 2 shown]
	v_add3_u32 v3, v3, v4, v1
	v_mov_b32_e32 v1, 0
	ds_load_b128 v[4:7], v30
	ds_load_b128 v[8:11], v30 offset:2048
	v_lshlrev_b64_e32 v[2:3], 4, v[2:3]
	v_mov_b32_e32 v15, v1
	v_lshlrev_b64_e32 v[16:17], 4, v[0:1]
	v_mov_b32_e32 v27, v1
	v_mov_b32_e32 v29, v1
	v_add_co_u32 v2, vcc_lo, s6, v2
	s_wait_alu 0xfffd
	v_add_co_ci_u32_e32 v3, vcc_lo, s7, v3, vcc_lo
	v_lshlrev_b64_e32 v[26:27], 4, v[26:27]
	s_delay_alu instid0(VALU_DEP_3) | instskip(SKIP_1) | instid1(VALU_DEP_3)
	v_add_co_u32 v2, vcc_lo, v2, v12
	s_wait_alu 0xfffd
	v_add_co_ci_u32_e32 v3, vcc_lo, v3, v13, vcc_lo
	v_lshlrev_b64_e32 v[12:13], 4, v[14:15]
	s_delay_alu instid0(VALU_DEP_3) | instskip(SKIP_1) | instid1(VALU_DEP_3)
	v_add_co_u32 v14, vcc_lo, v2, v16
	s_wait_alu 0xfffd
	v_add_co_ci_u32_e32 v15, vcc_lo, v3, v17, vcc_lo
	v_add_nc_u32_e32 v16, 0x100, v0
	s_delay_alu instid0(VALU_DEP_4)
	v_add_co_u32 v12, vcc_lo, v2, v12
	v_mov_b32_e32 v17, v1
	s_wait_alu 0xfffd
	v_add_co_ci_u32_e32 v13, vcc_lo, v3, v13, vcc_lo
	s_wait_dscnt 0x1
	global_store_b128 v[14:15], v[4:7], off
	s_wait_dscnt 0x0
	global_store_b128 v[12:13], v[8:11], off
	v_add_nc_u32_e32 v12, 0x180, v0
	v_lshlrev_b64_e32 v[4:5], 4, v[16:17]
	v_dual_mov_b32 v13, v1 :: v_dual_add_nc_u32 v14, 0x200, v0
	v_mov_b32_e32 v15, v1
	s_delay_alu instid0(VALU_DEP_3) | instskip(SKIP_1) | instid1(VALU_DEP_4)
	v_add_co_u32 v20, vcc_lo, v2, v4
	s_wait_alu 0xfffd
	v_add_co_ci_u32_e32 v21, vcc_lo, v3, v5, vcc_lo
	ds_load_b128 v[4:7], v30 offset:4096
	ds_load_b128 v[8:11], v30 offset:6144
	v_lshlrev_b64_e32 v[22:23], 4, v[12:13]
	v_lshlrev_b64_e32 v[24:25], 4, v[14:15]
	ds_load_b128 v[12:15], v30 offset:8192
	ds_load_b128 v[16:19], v30 offset:10240
	v_add_co_u32 v22, vcc_lo, v2, v22
	s_wait_alu 0xfffd
	v_add_co_ci_u32_e32 v23, vcc_lo, v3, v23, vcc_lo
	v_add_co_u32 v24, vcc_lo, v2, v24
	s_wait_alu 0xfffd
	v_add_co_ci_u32_e32 v25, vcc_lo, v3, v25, vcc_lo
	;; [unrolled: 3-line block ×3, first 2 shown]
	s_wait_dscnt 0x3
	global_store_b128 v[20:21], v[4:7], off
	s_wait_dscnt 0x2
	global_store_b128 v[22:23], v[8:11], off
	;; [unrolled: 2-line block ×4, first 2 shown]
	v_add_nc_u32_e32 v12, 0x380, v0
	v_lshlrev_b64_e32 v[4:5], 4, v[28:29]
	v_dual_mov_b32 v13, v1 :: v_dual_add_nc_u32 v14, 0x400, v0
	v_dual_mov_b32 v15, v1 :: v_dual_add_nc_u32 v26, 0x480, v0
	;; [unrolled: 1-line block ×3, first 2 shown]
	s_delay_alu instid0(VALU_DEP_4)
	v_add_co_u32 v20, vcc_lo, v2, v4
	s_wait_alu 0xfffd
	v_add_co_ci_u32_e32 v21, vcc_lo, v3, v5, vcc_lo
	ds_load_b128 v[4:7], v30 offset:12288
	ds_load_b128 v[8:11], v30 offset:14336
	v_lshlrev_b64_e32 v[22:23], 4, v[12:13]
	v_lshlrev_b64_e32 v[24:25], 4, v[14:15]
	ds_load_b128 v[12:15], v30 offset:16384
	ds_load_b128 v[16:19], v30 offset:18432
	v_lshlrev_b64_e32 v[26:27], 4, v[26:27]
	v_add_co_u32 v22, vcc_lo, v2, v22
	s_wait_alu 0xfffd
	v_add_co_ci_u32_e32 v23, vcc_lo, v3, v23, vcc_lo
	v_add_co_u32 v24, vcc_lo, v2, v24
	s_wait_alu 0xfffd
	v_add_co_ci_u32_e32 v25, vcc_lo, v3, v25, vcc_lo
	;; [unrolled: 3-line block ×3, first 2 shown]
	s_wait_dscnt 0x3
	global_store_b128 v[20:21], v[4:7], off
	s_wait_dscnt 0x2
	global_store_b128 v[22:23], v[8:11], off
	;; [unrolled: 2-line block ×4, first 2 shown]
	v_lshlrev_b64_e32 v[4:5], 4, v[28:29]
	v_dual_mov_b32 v13, v1 :: v_dual_add_nc_u32 v12, 0x580, v0
	v_dual_mov_b32 v15, v1 :: v_dual_add_nc_u32 v14, 0x600, v0
	v_dual_mov_b32 v27, v1 :: v_dual_add_nc_u32 v26, 0x680, v0
	s_delay_alu instid0(VALU_DEP_4)
	v_add_co_u32 v20, vcc_lo, v2, v4
	s_wait_alu 0xfffd
	v_add_co_ci_u32_e32 v21, vcc_lo, v3, v5, vcc_lo
	ds_load_b128 v[4:7], v30 offset:20480
	ds_load_b128 v[8:11], v30 offset:22528
	v_lshlrev_b64_e32 v[22:23], 4, v[12:13]
	v_lshlrev_b64_e32 v[24:25], 4, v[14:15]
	ds_load_b128 v[12:15], v30 offset:24576
	ds_load_b128 v[16:19], v30 offset:26624
	v_lshlrev_b64_e32 v[26:27], 4, v[26:27]
	v_add_nc_u32_e32 v28, 0x700, v0
	v_add_co_u32 v22, vcc_lo, v2, v22
	s_wait_alu 0xfffd
	v_add_co_ci_u32_e32 v23, vcc_lo, v3, v23, vcc_lo
	v_add_co_u32 v24, vcc_lo, v2, v24
	s_wait_alu 0xfffd
	v_add_co_ci_u32_e32 v25, vcc_lo, v3, v25, vcc_lo
	v_add_co_u32 v26, vcc_lo, v2, v26
	s_wait_alu 0xfffd
	v_add_co_ci_u32_e32 v27, vcc_lo, v3, v27, vcc_lo
	s_wait_dscnt 0x3
	global_store_b128 v[20:21], v[4:7], off
	s_wait_dscnt 0x2
	global_store_b128 v[22:23], v[8:11], off
	s_wait_dscnt 0x1
	global_store_b128 v[24:25], v[12:15], off
	s_wait_dscnt 0x0
	global_store_b128 v[26:27], v[16:19], off
	v_mov_b32_e32 v13, v1
	v_lshlrev_b64_e32 v[4:5], 4, v[28:29]
	v_dual_mov_b32 v15, v1 :: v_dual_add_nc_u32 v12, 0x780, v0
	v_dual_mov_b32 v27, v1 :: v_dual_add_nc_u32 v14, 0x800, v0
	v_add_nc_u32_e32 v26, 0x880, v0
	s_delay_alu instid0(VALU_DEP_4)
	v_add_co_u32 v20, vcc_lo, v2, v4
	s_wait_alu 0xfffd
	v_add_co_ci_u32_e32 v21, vcc_lo, v3, v5, vcc_lo
	ds_load_b128 v[4:7], v30 offset:28672
	ds_load_b128 v[8:11], v30 offset:30720
	v_lshlrev_b64_e32 v[22:23], 4, v[12:13]
	v_lshlrev_b64_e32 v[24:25], 4, v[14:15]
	ds_load_b128 v[12:15], v30 offset:32768
	ds_load_b128 v[16:19], v30 offset:34816
	v_lshlrev_b64_e32 v[26:27], 4, v[26:27]
	v_add_nc_u32_e32 v28, 0x900, v0
	v_add_co_u32 v22, vcc_lo, v2, v22
	s_wait_alu 0xfffd
	v_add_co_ci_u32_e32 v23, vcc_lo, v3, v23, vcc_lo
	v_add_co_u32 v24, vcc_lo, v2, v24
	s_wait_alu 0xfffd
	v_add_co_ci_u32_e32 v25, vcc_lo, v3, v25, vcc_lo
	v_add_co_u32 v26, vcc_lo, v2, v26
	s_wait_alu 0xfffd
	v_add_co_ci_u32_e32 v27, vcc_lo, v3, v27, vcc_lo
	s_wait_dscnt 0x3
	global_store_b128 v[20:21], v[4:7], off
	s_wait_dscnt 0x2
	global_store_b128 v[22:23], v[8:11], off
	s_wait_dscnt 0x1
	global_store_b128 v[24:25], v[12:15], off
	s_wait_dscnt 0x0
	global_store_b128 v[26:27], v[16:19], off
	v_mov_b32_e32 v15, v1
	v_lshlrev_b64_e32 v[4:5], 4, v[28:29]
	v_dual_mov_b32 v27, v1 :: v_dual_add_nc_u32 v12, 0x980, v0
	v_dual_mov_b32 v13, v1 :: v_dual_add_nc_u32 v14, 0xa00, v0
	v_add_nc_u32_e32 v26, 0xa80, v0
	;; [unrolled: 34-line block ×4, first 2 shown]
	s_delay_alu instid0(VALU_DEP_4)
	v_add_co_u32 v20, vcc_lo, v2, v4
	s_wait_alu 0xfffd
	v_add_co_ci_u32_e32 v21, vcc_lo, v3, v5, vcc_lo
	ds_load_b128 v[4:7], v30 offset:53248
	ds_load_b128 v[8:11], v30 offset:55296
	v_lshlrev_b64_e32 v[22:23], 4, v[12:13]
	v_lshlrev_b64_e32 v[24:25], 4, v[14:15]
	ds_load_b128 v[12:15], v30 offset:57344
	ds_load_b128 v[16:19], v30 offset:59392
	v_lshlrev_b64_e32 v[26:27], 4, v[26:27]
	v_add_co_u32 v22, vcc_lo, v2, v22
	s_wait_alu 0xfffd
	v_add_co_ci_u32_e32 v23, vcc_lo, v3, v23, vcc_lo
	v_add_co_u32 v24, vcc_lo, v2, v24
	s_wait_alu 0xfffd
	v_add_co_ci_u32_e32 v25, vcc_lo, v3, v25, vcc_lo
	;; [unrolled: 3-line block ×3, first 2 shown]
	v_cmp_eq_u32_e32 vcc_lo, 0x7f, v0
	s_wait_dscnt 0x3
	global_store_b128 v[20:21], v[4:7], off
	s_wait_dscnt 0x2
	global_store_b128 v[22:23], v[8:11], off
	s_wait_dscnt 0x1
	global_store_b128 v[24:25], v[12:15], off
	s_wait_dscnt 0x0
	global_store_b128 v[26:27], v[16:19], off
	s_and_b32 exec_lo, exec_lo, vcc_lo
	s_cbranch_execz .LBB0_20
; %bb.19:
	ds_load_b128 v[4:7], v1 offset:61440
	s_wait_dscnt 0x0
	global_store_b128 v[2:3], v[4:7], off offset:61440
.LBB0_20:
	s_nop 0
	s_sendmsg sendmsg(MSG_DEALLOC_VGPRS)
	s_endpgm
	.section	.rodata,"a",@progbits
	.p2align	6, 0x0
	.amdhsa_kernel fft_rtc_back_len3840_factors_10_6_2_2_2_2_2_2_wgs_128_tpt_128_halfLds_dp_op_CI_CI_unitstride_sbrr_R2C_dirReg
		.amdhsa_group_segment_fixed_size 0
		.amdhsa_private_segment_fixed_size 12
		.amdhsa_kernarg_size 104
		.amdhsa_user_sgpr_count 2
		.amdhsa_user_sgpr_dispatch_ptr 0
		.amdhsa_user_sgpr_queue_ptr 0
		.amdhsa_user_sgpr_kernarg_segment_ptr 1
		.amdhsa_user_sgpr_dispatch_id 0
		.amdhsa_user_sgpr_private_segment_size 0
		.amdhsa_wavefront_size32 1
		.amdhsa_uses_dynamic_stack 0
		.amdhsa_enable_private_segment 1
		.amdhsa_system_sgpr_workgroup_id_x 1
		.amdhsa_system_sgpr_workgroup_id_y 0
		.amdhsa_system_sgpr_workgroup_id_z 0
		.amdhsa_system_sgpr_workgroup_info 0
		.amdhsa_system_vgpr_workitem_id 0
		.amdhsa_next_free_vgpr 256
		.amdhsa_next_free_sgpr 39
		.amdhsa_reserve_vcc 1
		.amdhsa_float_round_mode_32 0
		.amdhsa_float_round_mode_16_64 0
		.amdhsa_float_denorm_mode_32 3
		.amdhsa_float_denorm_mode_16_64 3
		.amdhsa_fp16_overflow 0
		.amdhsa_workgroup_processor_mode 1
		.amdhsa_memory_ordered 1
		.amdhsa_forward_progress 0
		.amdhsa_round_robin_scheduling 0
		.amdhsa_exception_fp_ieee_invalid_op 0
		.amdhsa_exception_fp_denorm_src 0
		.amdhsa_exception_fp_ieee_div_zero 0
		.amdhsa_exception_fp_ieee_overflow 0
		.amdhsa_exception_fp_ieee_underflow 0
		.amdhsa_exception_fp_ieee_inexact 0
		.amdhsa_exception_int_div_zero 0
	.end_amdhsa_kernel
	.text
.Lfunc_end0:
	.size	fft_rtc_back_len3840_factors_10_6_2_2_2_2_2_2_wgs_128_tpt_128_halfLds_dp_op_CI_CI_unitstride_sbrr_R2C_dirReg, .Lfunc_end0-fft_rtc_back_len3840_factors_10_6_2_2_2_2_2_2_wgs_128_tpt_128_halfLds_dp_op_CI_CI_unitstride_sbrr_R2C_dirReg
                                        ; -- End function
	.section	.AMDGPU.csdata,"",@progbits
; Kernel info:
; codeLenInByte = 27996
; NumSgprs: 41
; NumVgprs: 256
; ScratchSize: 12
; MemoryBound: 0
; FloatMode: 240
; IeeeMode: 1
; LDSByteSize: 0 bytes/workgroup (compile time only)
; SGPRBlocks: 5
; VGPRBlocks: 31
; NumSGPRsForWavesPerEU: 41
; NumVGPRsForWavesPerEU: 256
; Occupancy: 5
; WaveLimiterHint : 1
; COMPUTE_PGM_RSRC2:SCRATCH_EN: 1
; COMPUTE_PGM_RSRC2:USER_SGPR: 2
; COMPUTE_PGM_RSRC2:TRAP_HANDLER: 0
; COMPUTE_PGM_RSRC2:TGID_X_EN: 1
; COMPUTE_PGM_RSRC2:TGID_Y_EN: 0
; COMPUTE_PGM_RSRC2:TGID_Z_EN: 0
; COMPUTE_PGM_RSRC2:TIDIG_COMP_CNT: 0
	.text
	.p2alignl 7, 3214868480
	.fill 96, 4, 3214868480
	.type	__hip_cuid_9460b7cdbbcdd802,@object ; @__hip_cuid_9460b7cdbbcdd802
	.section	.bss,"aw",@nobits
	.globl	__hip_cuid_9460b7cdbbcdd802
__hip_cuid_9460b7cdbbcdd802:
	.byte	0                               ; 0x0
	.size	__hip_cuid_9460b7cdbbcdd802, 1

	.ident	"AMD clang version 19.0.0git (https://github.com/RadeonOpenCompute/llvm-project roc-6.4.0 25133 c7fe45cf4b819c5991fe208aaa96edf142730f1d)"
	.section	".note.GNU-stack","",@progbits
	.addrsig
	.addrsig_sym __hip_cuid_9460b7cdbbcdd802
	.amdgpu_metadata
---
amdhsa.kernels:
  - .args:
      - .actual_access:  read_only
        .address_space:  global
        .offset:         0
        .size:           8
        .value_kind:     global_buffer
      - .offset:         8
        .size:           8
        .value_kind:     by_value
      - .actual_access:  read_only
        .address_space:  global
        .offset:         16
        .size:           8
        .value_kind:     global_buffer
      - .actual_access:  read_only
        .address_space:  global
        .offset:         24
        .size:           8
        .value_kind:     global_buffer
      - .actual_access:  read_only
        .address_space:  global
        .offset:         32
        .size:           8
        .value_kind:     global_buffer
      - .offset:         40
        .size:           8
        .value_kind:     by_value
      - .actual_access:  read_only
        .address_space:  global
        .offset:         48
        .size:           8
        .value_kind:     global_buffer
      - .actual_access:  read_only
        .address_space:  global
        .offset:         56
        .size:           8
        .value_kind:     global_buffer
      - .offset:         64
        .size:           4
        .value_kind:     by_value
      - .actual_access:  read_only
        .address_space:  global
        .offset:         72
        .size:           8
        .value_kind:     global_buffer
      - .actual_access:  read_only
        .address_space:  global
        .offset:         80
        .size:           8
        .value_kind:     global_buffer
      - .actual_access:  read_only
        .address_space:  global
        .offset:         88
        .size:           8
        .value_kind:     global_buffer
      - .actual_access:  write_only
        .address_space:  global
        .offset:         96
        .size:           8
        .value_kind:     global_buffer
    .group_segment_fixed_size: 0
    .kernarg_segment_align: 8
    .kernarg_segment_size: 104
    .language:       OpenCL C
    .language_version:
      - 2
      - 0
    .max_flat_workgroup_size: 128
    .name:           fft_rtc_back_len3840_factors_10_6_2_2_2_2_2_2_wgs_128_tpt_128_halfLds_dp_op_CI_CI_unitstride_sbrr_R2C_dirReg
    .private_segment_fixed_size: 12
    .sgpr_count:     41
    .sgpr_spill_count: 0
    .symbol:         fft_rtc_back_len3840_factors_10_6_2_2_2_2_2_2_wgs_128_tpt_128_halfLds_dp_op_CI_CI_unitstride_sbrr_R2C_dirReg.kd
    .uniform_work_group_size: 1
    .uses_dynamic_stack: false
    .vgpr_count:     256
    .vgpr_spill_count: 2
    .wavefront_size: 32
    .workgroup_processor_mode: 1
amdhsa.target:   amdgcn-amd-amdhsa--gfx1201
amdhsa.version:
  - 1
  - 2
...

	.end_amdgpu_metadata
